;; amdgpu-corpus repo=ROCm/rocFFT kind=compiled arch=gfx906 opt=O3
	.text
	.amdgcn_target "amdgcn-amd-amdhsa--gfx906"
	.amdhsa_code_object_version 6
	.protected	bluestein_single_back_len34_dim1_sp_op_CI_CI ; -- Begin function bluestein_single_back_len34_dim1_sp_op_CI_CI
	.globl	bluestein_single_back_len34_dim1_sp_op_CI_CI
	.p2align	8
	.type	bluestein_single_back_len34_dim1_sp_op_CI_CI,@function
bluestein_single_back_len34_dim1_sp_op_CI_CI: ; @bluestein_single_back_len34_dim1_sp_op_CI_CI
; %bb.0:
	v_mul_u32_u24_e32 v1, 0xf10, v0
	s_load_dwordx4 s[0:3], s[4:5], 0x28
	v_lshrrev_b32_e32 v1, 16, v1
	v_mad_u64_u32 v[34:35], s[6:7], s6, 15, v[1:2]
	v_mov_b32_e32 v35, 0
	s_waitcnt lgkmcnt(0)
	v_cmp_gt_u64_e32 vcc, s[0:1], v[34:35]
	s_and_saveexec_b64 s[0:1], vcc
	s_cbranch_execz .LBB0_15
; %bb.1:
	s_mov_b32 s0, 0x88888889
	v_mul_hi_u32 v2, v34, s0
	s_load_dwordx2 s[6:7], s[4:5], 0x0
	s_load_dwordx2 s[12:13], s[4:5], 0x38
	v_mul_lo_u16_e32 v1, 17, v1
	v_sub_u16_e32 v83, v0, v1
	v_lshrrev_b32_e32 v2, 3, v2
	v_mul_lo_u32 v2, v2, 15
	v_cmp_gt_u16_e32 vcc, 2, v83
	v_lshlrev_b32_e32 v66, 3, v83
	v_or_b32_e32 v81, 2, v83
	v_sub_u32_e32 v0, v34, v2
	v_mul_u32_u24_e32 v82, 34, v0
	v_or_b32_e32 v0, v82, v83
	v_lshlrev_b32_e32 v84, 3, v0
	v_or_b32_e32 v80, 4, v83
	v_or_b32_e32 v79, 6, v83
	;; [unrolled: 1-line block ×15, first 2 shown]
	s_and_saveexec_b64 s[14:15], vcc
	s_cbranch_execz .LBB0_3
; %bb.2:
	s_load_dwordx2 s[0:1], s[4:5], 0x18
	v_mov_b32_e32 v8, s3
	s_waitcnt lgkmcnt(0)
	s_load_dwordx4 s[8:11], s[0:1], 0x0
	s_waitcnt lgkmcnt(0)
	v_mad_u64_u32 v[0:1], s[0:1], s10, v34, 0
	v_mad_u64_u32 v[2:3], s[0:1], s8, v83, 0
	;; [unrolled: 1-line block ×5, first 2 shown]
	v_mov_b32_e32 v1, v4
	v_lshlrev_b64 v[0:1], 3, v[0:1]
	v_mov_b32_e32 v3, v5
	v_add_co_u32_e64 v93, s[0:1], s2, v0
	v_mov_b32_e32 v0, v7
	v_addc_co_u32_e64 v94, s[0:1], v8, v1, s[0:1]
	v_mad_u64_u32 v[0:1], s[0:1], s9, v81, v[0:1]
	v_mad_u64_u32 v[4:5], s[0:1], s8, v80, 0
	v_lshlrev_b64 v[2:3], 3, v[2:3]
	v_mov_b32_e32 v7, v0
	v_add_co_u32_e64 v1, s[0:1], v93, v2
	v_mov_b32_e32 v0, v5
	v_addc_co_u32_e64 v2, s[0:1], v94, v3, s[0:1]
	v_mad_u64_u32 v[8:9], s[0:1], s9, v80, v[0:1]
	v_mad_u64_u32 v[9:10], s[0:1], s8, v79, 0
	v_lshlrev_b64 v[6:7], 3, v[6:7]
	v_mov_b32_e32 v5, v8
	v_add_co_u32_e64 v6, s[0:1], v93, v6
	v_mov_b32_e32 v0, v10
	v_addc_co_u32_e64 v7, s[0:1], v94, v7, s[0:1]
	v_mad_u64_u32 v[10:11], s[0:1], s9, v79, v[0:1]
	v_lshlrev_b64 v[3:4], 3, v[4:5]
	v_add_co_u32_e64 v3, s[0:1], v93, v3
	v_lshlrev_b64 v[8:9], 3, v[9:10]
	v_addc_co_u32_e64 v4, s[0:1], v94, v4, s[0:1]
	v_add_co_u32_e64 v8, s[0:1], v93, v8
	v_addc_co_u32_e64 v9, s[0:1], v94, v9, s[0:1]
	global_load_dwordx2 v[12:13], v[1:2], off
	global_load_dwordx2 v[14:15], v[6:7], off
	;; [unrolled: 1-line block ×4, first 2 shown]
	v_mad_u64_u32 v[10:11], s[0:1], s8, v78, 0
	v_mad_u64_u32 v[0:1], s[0:1], s8, v77, 0
	v_mov_b32_e32 v2, v11
	v_mad_u64_u32 v[2:3], s[0:1], s9, v78, v[2:3]
	v_mad_u64_u32 v[3:4], s[0:1], s9, v77, v[1:2]
	v_mov_b32_e32 v11, v2
	global_load_dwordx2 v[4:5], v66, s[6:7]
	global_load_dwordx2 v[6:7], v66, s[6:7] offset:16
	global_load_dwordx2 v[8:9], v66, s[6:7] offset:32
	;; [unrolled: 1-line block ×3, first 2 shown]
	v_mov_b32_e32 v1, v3
	v_lshlrev_b64 v[2:3], 3, v[10:11]
	v_mad_u64_u32 v[10:11], s[0:1], s8, v76, 0
	v_add_co_u32_e64 v2, s[0:1], v93, v2
	v_addc_co_u32_e64 v3, s[0:1], v94, v3, s[0:1]
	v_lshlrev_b64 v[0:1], 3, v[0:1]
	s_waitcnt vmcnt(7)
	v_mad_u64_u32 v[22:23], s[0:1], s9, v76, v[11:12]
	v_mad_u64_u32 v[23:24], s[0:1], s8, v75, 0
	v_add_co_u32_e64 v0, s[0:1], v93, v0
	v_mov_b32_e32 v11, v22
	v_mov_b32_e32 v22, v24
	v_addc_co_u32_e64 v1, s[0:1], v94, v1, s[0:1]
	v_mad_u64_u32 v[24:25], s[0:1], s9, v75, v[22:23]
	v_lshlrev_b64 v[10:11], 3, v[10:11]
	v_add_co_u32_e64 v10, s[0:1], v93, v10
	v_lshlrev_b64 v[22:23], 3, v[23:24]
	v_addc_co_u32_e64 v11, s[0:1], v94, v11, s[0:1]
	v_add_co_u32_e64 v22, s[0:1], v93, v22
	v_addc_co_u32_e64 v23, s[0:1], v94, v23, s[0:1]
	v_mad_u64_u32 v[24:25], s[0:1], s8, v74, 0
	global_load_dwordx2 v[26:27], v[2:3], off
	global_load_dwordx2 v[28:29], v[0:1], off
	;; [unrolled: 1-line block ×4, first 2 shown]
	v_mad_u64_u32 v[39:40], s[0:1], s8, v72, 0
	v_mov_b32_e32 v0, v25
	v_mad_u64_u32 v[0:1], s[0:1], s9, v74, v[0:1]
	v_mad_u64_u32 v[1:2], s[0:1], s8, v73, 0
	v_mov_b32_e32 v25, v0
	v_lshlrev_b64 v[24:25], 3, v[24:25]
	v_mov_b32_e32 v0, v2
	v_mad_u64_u32 v[2:3], s[0:1], s9, v73, v[0:1]
	v_add_co_u32_e64 v24, s[0:1], v93, v24
	v_lshlrev_b64 v[0:1], 3, v[1:2]
	v_mov_b32_e32 v2, v40
	v_addc_co_u32_e64 v25, s[0:1], v94, v25, s[0:1]
	v_mad_u64_u32 v[2:3], s[0:1], s9, v72, v[2:3]
	v_mad_u64_u32 v[41:42], s[0:1], s8, v71, 0
	v_mov_b32_e32 v40, v2
	v_add_co_u32_e64 v0, s[0:1], v93, v0
	v_lshlrev_b64 v[2:3], 3, v[39:40]
	v_mov_b32_e32 v39, v42
	v_addc_co_u32_e64 v1, s[0:1], v94, v1, s[0:1]
	v_mad_u64_u32 v[39:40], s[0:1], s9, v71, v[39:40]
	v_add_co_u32_e64 v2, s[0:1], v93, v2
	v_mov_b32_e32 v42, v39
	v_lshlrev_b64 v[39:40], 3, v[41:42]
	v_addc_co_u32_e64 v3, s[0:1], v94, v3, s[0:1]
	v_add_co_u32_e64 v39, s[0:1], v93, v39
	global_load_dwordx2 v[10:11], v66, s[6:7] offset:64
	global_load_dwordx2 v[22:23], v66, s[6:7] offset:80
	;; [unrolled: 1-line block ×4, first 2 shown]
	v_addc_co_u32_e64 v40, s[0:1], v94, v40, s[0:1]
	global_load_dwordx2 v[43:44], v[24:25], off
	global_load_dwordx2 v[45:46], v[0:1], off
	;; [unrolled: 1-line block ×4, first 2 shown]
	v_mad_u64_u32 v[41:42], s[0:1], s8, v70, 0
	v_mad_u64_u32 v[55:56], s[0:1], s8, v68, 0
	v_mov_b32_e32 v0, v42
	v_mad_u64_u32 v[0:1], s[0:1], s9, v70, v[0:1]
	v_mad_u64_u32 v[1:2], s[0:1], s8, v69, 0
	v_mov_b32_e32 v42, v0
	v_lshlrev_b64 v[41:42], 3, v[41:42]
	v_mov_b32_e32 v0, v2
	v_mad_u64_u32 v[2:3], s[0:1], s9, v69, v[0:1]
	v_add_co_u32_e64 v41, s[0:1], v93, v41
	v_lshlrev_b64 v[0:1], 3, v[1:2]
	v_mov_b32_e32 v2, v56
	v_addc_co_u32_e64 v42, s[0:1], v94, v42, s[0:1]
	v_mad_u64_u32 v[2:3], s[0:1], s9, v68, v[2:3]
	v_mad_u64_u32 v[57:58], s[0:1], s8, v67, 0
	v_mov_b32_e32 v56, v2
	v_add_co_u32_e64 v0, s[0:1], v93, v0
	v_lshlrev_b64 v[2:3], 3, v[55:56]
	v_mov_b32_e32 v55, v58
	v_addc_co_u32_e64 v1, s[0:1], v94, v1, s[0:1]
	v_mad_u64_u32 v[55:56], s[0:1], s9, v67, v[55:56]
	v_add_co_u32_e64 v2, s[0:1], v93, v2
	v_mov_b32_e32 v58, v55
	global_load_dwordx2 v[24:25], v66, s[6:7] offset:128
	global_load_dwordx2 v[39:40], v66, s[6:7] offset:144
	;; [unrolled: 1-line block ×4, first 2 shown]
	v_addc_co_u32_e64 v3, s[0:1], v94, v3, s[0:1]
	v_lshlrev_b64 v[55:56], 3, v[57:58]
	global_load_dwordx2 v[57:58], v[41:42], off
	global_load_dwordx2 v[59:60], v66, s[6:7] offset:192
	v_mad_u64_u32 v[41:42], s[0:1], s8, v65, 0
	v_add_co_u32_e64 v55, s[0:1], v93, v55
	v_addc_co_u32_e64 v56, s[0:1], v94, v56, s[0:1]
	global_load_dwordx2 v[61:62], v66, s[6:7] offset:208
	s_nop 0
	global_load_dwordx2 v[0:1], v[0:1], off
	s_nop 0
	global_load_dwordx2 v[85:86], v[2:3], off
	global_load_dwordx2 v[87:88], v[55:56], off
	global_load_dwordx2 v[89:90], v66, s[6:7] offset:224
	global_load_dwordx2 v[91:92], v66, s[6:7] offset:240
	s_waitcnt vmcnt(15)
	v_mad_u64_u32 v[63:64], s[0:1], s9, v65, v[42:43]
	v_mov_b32_e32 v42, v63
	v_lshlrev_b64 v[2:3], 3, v[41:42]
	v_add_co_u32_e64 v2, s[0:1], v93, v2
	v_addc_co_u32_e64 v3, s[0:1], v94, v3, s[0:1]
	global_load_dwordx2 v[41:42], v[2:3], off
	global_load_dwordx2 v[55:56], v66, s[6:7] offset:256
	v_mul_f32_e32 v2, v12, v5
	v_fma_f32 v3, v13, v4, -v2
	v_mul_f32_e32 v2, v13, v5
	v_fmac_f32_e32 v2, v12, v4
	v_mul_f32_e32 v4, v14, v7
	v_fma_f32 v5, v15, v6, -v4
	v_mul_f32_e32 v4, v15, v7
	v_fmac_f32_e32 v4, v14, v6
	;; [unrolled: 4-line block ×3, first 2 shown]
	v_mul_f32_e32 v8, v18, v21
	ds_write_b64 v84, v[2:3]
	v_mul_f32_e32 v2, v26, v11
	v_fma_f32 v9, v19, v20, -v8
	v_mul_f32_e32 v8, v19, v21
	v_fma_f32 v3, v27, v10, -v2
	v_mul_f32_e32 v2, v27, v11
	v_fmac_f32_e32 v8, v18, v20
	v_lshl_add_u32 v12, v82, 3, v66
	v_fmac_f32_e32 v2, v26, v10
	ds_write2_b64 v12, v[4:5], v[6:7] offset0:2 offset1:4
	ds_write2_b64 v12, v[8:9], v[2:3] offset0:6 offset1:8
	v_mul_f32_e32 v2, v28, v23
	v_mul_f32_e32 v4, v30, v36
	v_fma_f32 v3, v29, v22, -v2
	v_mul_f32_e32 v2, v29, v23
	v_fma_f32 v5, v31, v35, -v4
	v_mul_f32_e32 v4, v31, v36
	v_fmac_f32_e32 v2, v28, v22
	v_fmac_f32_e32 v4, v30, v35
	ds_write2_b64 v12, v[2:3], v[4:5] offset0:10 offset1:12
	v_mul_f32_e32 v2, v32, v38
	s_waitcnt vmcnt(13)
	v_mul_f32_e32 v4, v43, v25
	v_fma_f32 v3, v33, v37, -v2
	v_mul_f32_e32 v2, v33, v38
	v_fma_f32 v5, v44, v24, -v4
	v_mul_f32_e32 v4, v44, v25
	v_fmac_f32_e32 v2, v32, v37
	v_fmac_f32_e32 v4, v43, v24
	ds_write2_b64 v12, v[2:3], v[4:5] offset0:14 offset1:16
	s_waitcnt vmcnt(12)
	v_mul_f32_e32 v2, v45, v40
	s_waitcnt vmcnt(11)
	v_mul_f32_e32 v4, v47, v52
	v_fma_f32 v3, v46, v39, -v2
	v_mul_f32_e32 v2, v46, v40
	v_fma_f32 v5, v48, v51, -v4
	v_mul_f32_e32 v4, v48, v52
	v_fmac_f32_e32 v2, v45, v39
	v_fmac_f32_e32 v4, v47, v51
	ds_write2_b64 v12, v[2:3], v[4:5] offset0:18 offset1:20
	s_waitcnt vmcnt(10)
	v_mul_f32_e32 v2, v49, v54
	s_waitcnt vmcnt(8)
	v_mul_f32_e32 v4, v57, v60
	v_fma_f32 v3, v50, v53, -v2
	v_mul_f32_e32 v2, v50, v54
	v_fma_f32 v5, v58, v59, -v4
	v_mul_f32_e32 v4, v58, v60
	v_fmac_f32_e32 v2, v49, v53
	v_fmac_f32_e32 v4, v57, v59
	ds_write2_b64 v12, v[2:3], v[4:5] offset0:22 offset1:24
	s_waitcnt vmcnt(6)
	v_mul_f32_e32 v2, v0, v62
	v_fma_f32 v2, v1, v61, -v2
	v_mul_f32_e32 v1, v1, v62
	v_fmac_f32_e32 v1, v0, v61
	s_waitcnt vmcnt(3)
	v_mul_f32_e32 v0, v85, v90
	v_mul_f32_e32 v3, v86, v90
	v_fma_f32 v4, v86, v89, -v0
	v_fmac_f32_e32 v3, v85, v89
	ds_write2_b64 v12, v[1:2], v[3:4] offset0:26 offset1:28
	s_waitcnt vmcnt(2)
	v_mul_f32_e32 v0, v87, v92
	v_fma_f32 v1, v88, v91, -v0
	v_mul_f32_e32 v0, v88, v92
	v_fmac_f32_e32 v0, v87, v91
	s_waitcnt vmcnt(0)
	v_mul_f32_e32 v2, v41, v56
	v_fma_f32 v3, v42, v55, -v2
	v_mul_f32_e32 v2, v42, v56
	v_fmac_f32_e32 v2, v41, v55
	ds_write2_b64 v12, v[0:1], v[2:3] offset0:30 offset1:32
.LBB0_3:
	s_or_b64 exec, exec, s[14:15]
	s_load_dwordx2 s[0:1], s[4:5], 0x20
	s_load_dwordx2 s[8:9], s[4:5], 0x8
	v_mov_b32_e32 v35, 0
	v_mov_b32_e32 v36, 0
	v_lshlrev_b32_e32 v85, 3, v82
	s_waitcnt lgkmcnt(0)
	s_barrier
	s_waitcnt lgkmcnt(0)
                                        ; implicit-def: $vgpr3
                                        ; implicit-def: $vgpr5
                                        ; implicit-def: $vgpr9
                                        ; implicit-def: $vgpr13
                                        ; implicit-def: $vgpr31
                                        ; implicit-def: $vgpr27
                                        ; implicit-def: $vgpr23
                                        ; implicit-def: $vgpr19
	s_and_saveexec_b64 s[2:3], vcc
	s_cbranch_execz .LBB0_5
; %bb.4:
	v_lshl_add_u32 v28, v83, 3, v85
	ds_read_b64 v[35:36], v84
	ds_read2_b64 v[0:3], v28 offset0:2 offset1:4
	ds_read2_b64 v[4:7], v28 offset0:6 offset1:8
	;; [unrolled: 1-line block ×8, first 2 shown]
.LBB0_5:
	s_or_b64 exec, exec, s[2:3]
	s_waitcnt lgkmcnt(0)
	v_sub_f32_e32 v33, v1, v31
	v_mul_f32_e32 v86, 0xbeb8f4ab, v33
	v_add_f32_e32 v90, v2, v28
	v_add_f32_e32 v88, v30, v0
	v_sub_f32_e32 v32, v0, v30
	v_mov_b32_e32 v37, v86
	v_mul_f32_e32 v91, 0x3f3d2fb0, v90
	v_add_f32_e32 v89, v31, v1
	s_mov_b32 s14, 0x3f6eb680
	v_mul_f32_e32 v87, 0xbeb8f4ab, v32
	v_fmac_f32_e32 v37, 0x3f6eb680, v88
	v_sub_f32_e32 v95, v2, v28
	v_sub_f32_e32 v94, v3, v29
	v_mov_b32_e32 v96, v91
	v_add_f32_e32 v37, v37, v35
	v_fma_f32 v38, v89, s14, -v87
	s_mov_b32 s10, 0x3f3d2fb0
	v_add_f32_e32 v93, v3, v29
	v_mul_f32_e32 v92, 0xbf2c7751, v95
	v_fmac_f32_e32 v96, 0xbf2c7751, v94
	v_add_f32_e32 v38, v38, v36
	v_add_f32_e32 v37, v96, v37
	v_fma_f32 v96, v93, s10, -v92
	v_mul_f32_e32 v39, 0xbf2c7751, v33
	v_add_f32_e32 v38, v96, v38
	v_mul_f32_e32 v96, 0x3dbcf732, v90
	v_fma_f32 v40, v88, s10, -v39
	v_mov_b32_e32 v97, v96
	v_add_f32_e32 v40, v40, v35
	v_mul_f32_e32 v41, 0xbf2c7751, v32
	v_fmac_f32_e32 v39, 0x3f3d2fb0, v88
	v_fmac_f32_e32 v97, 0x3f7ee86f, v94
	v_mov_b32_e32 v42, v41
	v_add_f32_e32 v39, v39, v35
	v_fma_f32 v41, v89, s10, -v41
	s_mov_b32 s2, 0x3dbcf732
	v_add_f32_e32 v40, v97, v40
	v_mul_f32_e32 v97, 0xbf7ee86f, v95
	v_fmac_f32_e32 v96, 0xbf7ee86f, v94
	v_add_f32_e32 v41, v41, v36
	v_add_f32_e32 v39, v96, v39
	v_fma_f32 v96, v93, s2, -v97
	v_mul_f32_e32 v43, 0xbf65296c, v33
	s_mov_b32 s4, 0x3ee437d1
	v_add_f32_e32 v41, v96, v41
	v_mul_f32_e32 v96, 0xbf1a4643, v90
	v_fma_f32 v44, v88, s4, -v43
	v_mov_b32_e32 v98, v97
	v_mov_b32_e32 v97, v96
	v_add_f32_e32 v44, v44, v35
	v_mul_f32_e32 v45, 0xbf65296c, v32
	v_fmac_f32_e32 v43, 0x3ee437d1, v88
	v_fmac_f32_e32 v97, 0x3f4c4adb, v94
	v_mov_b32_e32 v46, v45
	v_add_f32_e32 v43, v43, v35
	v_fma_f32 v45, v89, s4, -v45
	s_mov_b32 s5, 0xbf1a4643
	v_add_f32_e32 v44, v97, v44
	v_mul_f32_e32 v97, 0xbf4c4adb, v95
	v_fmac_f32_e32 v96, 0xbf4c4adb, v94
	v_fmac_f32_e32 v42, 0x3f3d2fb0, v89
	v_add_f32_e32 v45, v45, v36
	v_add_f32_e32 v43, v96, v43
	v_fma_f32 v96, v93, s5, -v97
	v_add_f32_e32 v42, v42, v36
	v_mul_f32_e32 v47, 0xbf7ee86f, v33
	v_fmac_f32_e32 v98, 0x3dbcf732, v93
	v_add_f32_e32 v45, v96, v45
	v_mul_f32_e32 v96, 0xbf7ba420, v90
	v_fma_f32 v48, v88, s2, -v47
	v_add_f32_e32 v42, v98, v42
	v_mov_b32_e32 v98, v97
	v_mov_b32_e32 v97, v96
	v_add_f32_e32 v48, v48, v35
	v_mul_f32_e32 v49, 0xbf7ee86f, v32
	v_fmac_f32_e32 v47, 0x3dbcf732, v88
	v_fmac_f32_e32 v97, 0x3e3c28d5, v94
	v_mov_b32_e32 v50, v49
	v_add_f32_e32 v47, v47, v35
	v_fma_f32 v49, v89, s2, -v49
	s_mov_b32 s15, 0xbf7ba420
	v_add_f32_e32 v48, v97, v48
	v_mul_f32_e32 v97, 0xbe3c28d5, v95
	v_fmac_f32_e32 v96, 0xbe3c28d5, v94
	v_fmac_f32_e32 v46, 0x3ee437d1, v89
	v_add_f32_e32 v49, v49, v36
	v_add_f32_e32 v47, v96, v47
	v_fma_f32 v96, v93, s15, -v97
	v_add_f32_e32 v46, v46, v36
	v_mul_f32_e32 v51, 0xbf763a35, v33
	s_mov_b32 s3, 0xbe8c1d8e
	v_fmac_f32_e32 v98, 0xbf1a4643, v93
	v_add_f32_e32 v49, v96, v49
	v_mul_f32_e32 v96, 0xbf59a7d5, v90
	v_fma_f32 v52, v88, s3, -v51
	v_add_f32_e32 v46, v98, v46
	v_mov_b32_e32 v98, v97
	v_mov_b32_e32 v97, v96
	v_add_f32_e32 v52, v52, v35
	v_mul_f32_e32 v53, 0xbf763a35, v32
	v_fmac_f32_e32 v51, 0xbe8c1d8e, v88
	v_fmac_f32_e32 v97, 0xbf06c442, v94
	v_mov_b32_e32 v54, v53
	v_add_f32_e32 v51, v51, v35
	v_fma_f32 v53, v89, s3, -v53
	s_mov_b32 s11, 0xbf59a7d5
	v_add_f32_e32 v52, v97, v52
	v_mul_f32_e32 v97, 0x3f06c442, v95
	v_fmac_f32_e32 v96, 0x3f06c442, v94
	v_fmac_f32_e32 v50, 0x3dbcf732, v89
	v_add_f32_e32 v53, v53, v36
	v_add_f32_e32 v51, v96, v51
	v_fma_f32 v96, v93, s11, -v97
	v_add_f32_e32 v50, v50, v36
	v_mul_f32_e32 v55, 0xbf4c4adb, v33
	v_fmac_f32_e32 v98, 0xbf7ba420, v93
	v_add_f32_e32 v53, v96, v53
	v_mul_f32_e32 v96, 0xbe8c1d8e, v90
	v_fma_f32 v56, v88, s5, -v55
	v_add_f32_e32 v50, v98, v50
	v_mov_b32_e32 v98, v97
	v_mov_b32_e32 v97, v96
	v_add_f32_e32 v56, v56, v35
	v_mul_f32_e32 v57, 0xbf4c4adb, v32
	v_fmac_f32_e32 v55, 0xbf1a4643, v88
	v_fmac_f32_e32 v97, 0xbf763a35, v94
	v_mov_b32_e32 v58, v57
	v_add_f32_e32 v55, v55, v35
	v_fma_f32 v57, v89, s5, -v57
	v_add_f32_e32 v56, v97, v56
	v_mul_f32_e32 v97, 0x3f763a35, v95
	v_fmac_f32_e32 v96, 0x3f763a35, v94
	v_fmac_f32_e32 v54, 0xbe8c1d8e, v89
	v_add_f32_e32 v57, v57, v36
	v_add_f32_e32 v55, v96, v55
	v_fma_f32 v96, v93, s3, -v97
	v_add_f32_e32 v54, v54, v36
	v_mul_f32_e32 v59, 0xbf06c442, v33
	v_fmac_f32_e32 v98, 0xbf59a7d5, v93
	v_add_f32_e32 v57, v96, v57
	v_mul_f32_e32 v96, 0x3ee437d1, v90
	v_fma_f32 v60, v88, s11, -v59
	v_add_f32_e32 v54, v98, v54
	v_mov_b32_e32 v98, v97
	v_mov_b32_e32 v97, v96
	v_add_f32_e32 v60, v60, v35
	v_mul_f32_e32 v61, 0xbf06c442, v32
	v_fmac_f32_e32 v59, 0xbf59a7d5, v88
	v_fmac_f32_e32 v97, 0xbf65296c, v94
	v_mov_b32_e32 v62, v61
	v_add_f32_e32 v59, v59, v35
	v_fma_f32 v61, v89, s11, -v61
	v_mul_f32_e32 v33, 0xbe3c28d5, v33
	v_add_f32_e32 v60, v97, v60
	v_mul_f32_e32 v97, 0x3f65296c, v95
	v_fmac_f32_e32 v96, 0x3f65296c, v94
	v_add_f32_e32 v61, v61, v36
	v_fma_f32 v63, v88, s15, -v33
	v_mul_f32_e32 v32, 0xbe3c28d5, v32
	v_fmac_f32_e32 v33, 0xbf7ba420, v88
	v_add_f32_e32 v59, v96, v59
	v_fma_f32 v96, v93, s4, -v97
	v_mul_f32_e32 v90, 0x3f6eb680, v90
	v_fmac_f32_e32 v58, 0xbf1a4643, v89
	v_mov_b32_e32 v64, v32
	v_add_f32_e32 v33, v33, v35
	v_fma_f32 v32, v89, s15, -v32
	v_add_f32_e32 v61, v96, v61
	v_mov_b32_e32 v96, v90
	v_mul_f32_e32 v95, 0x3eb8f4ab, v95
	v_fmac_f32_e32 v90, 0x3eb8f4ab, v94
	v_add_f32_e32 v58, v58, v36
	v_add_f32_e32 v32, v32, v36
	v_fmac_f32_e32 v98, 0xbe8c1d8e, v93
	v_add_f32_e32 v33, v90, v33
	v_fma_f32 v90, v93, s14, -v95
	v_fmac_f32_e32 v62, 0xbf59a7d5, v89
	v_add_f32_e32 v63, v63, v35
	v_add_f32_e32 v58, v98, v58
	v_mov_b32_e32 v98, v97
	v_fmac_f32_e32 v96, 0xbeb8f4ab, v94
	v_add_f32_e32 v32, v90, v32
	v_add_f32_e32 v90, v4, v26
	;; [unrolled: 1-line block ×3, first 2 shown]
	v_fmac_f32_e32 v64, 0xbf7ba420, v89
	v_fmac_f32_e32 v98, 0x3ee437d1, v93
	v_add_f32_e32 v63, v96, v63
	v_mov_b32_e32 v96, v95
	v_mul_f32_e32 v95, 0x3ee437d1, v90
	v_add_f32_e32 v64, v64, v36
	v_add_f32_e32 v62, v98, v62
	v_fmac_f32_e32 v96, 0x3f6eb680, v93
	v_sub_f32_e32 v99, v4, v26
	v_sub_f32_e32 v98, v5, v27
	v_mov_b32_e32 v100, v95
	v_add_f32_e32 v64, v96, v64
	v_add_f32_e32 v97, v5, v27
	v_mul_f32_e32 v96, 0xbf65296c, v99
	v_fmac_f32_e32 v100, 0xbf65296c, v98
	v_add_f32_e32 v37, v100, v37
	v_fma_f32 v100, v97, s4, -v96
	v_add_f32_e32 v38, v100, v38
	v_mul_f32_e32 v100, 0xbf1a4643, v90
	v_mov_b32_e32 v101, v100
	v_fmac_f32_e32 v101, 0x3f4c4adb, v98
	v_add_f32_e32 v40, v101, v40
	v_mul_f32_e32 v101, 0xbf4c4adb, v99
	v_fmac_f32_e32 v100, 0xbf4c4adb, v98
	v_add_f32_e32 v39, v100, v39
	v_fma_f32 v100, v97, s5, -v101
	v_add_f32_e32 v41, v100, v41
	v_mul_f32_e32 v100, 0xbf7ba420, v90
	v_mov_b32_e32 v102, v101
	v_mov_b32_e32 v101, v100
	v_fmac_f32_e32 v101, 0xbe3c28d5, v98
	v_add_f32_e32 v44, v101, v44
	v_mul_f32_e32 v101, 0x3e3c28d5, v99
	v_fmac_f32_e32 v100, 0x3e3c28d5, v98
	v_add_f32_e32 v43, v100, v43
	v_fma_f32 v100, v97, s15, -v101
	v_fmac_f32_e32 v102, 0xbf1a4643, v97
	v_add_f32_e32 v45, v100, v45
	v_mul_f32_e32 v100, 0xbe8c1d8e, v90
	v_add_f32_e32 v42, v102, v42
	v_mov_b32_e32 v102, v101
	v_mov_b32_e32 v101, v100
	v_fmac_f32_e32 v101, 0xbf763a35, v98
	v_add_f32_e32 v48, v101, v48
	v_mul_f32_e32 v101, 0x3f763a35, v99
	v_fmac_f32_e32 v100, 0x3f763a35, v98
	v_add_f32_e32 v47, v100, v47
	v_fma_f32 v100, v97, s3, -v101
	v_fmac_f32_e32 v102, 0xbf7ba420, v97
	v_add_f32_e32 v49, v100, v49
	v_mul_f32_e32 v100, 0x3f3d2fb0, v90
	v_add_f32_e32 v46, v102, v46
	;; [unrolled: 12-line block ×4, first 2 shown]
	v_mov_b32_e32 v102, v101
	v_mov_b32_e32 v101, v100
	v_fmac_f32_e32 v101, 0x3f7ee86f, v98
	v_add_f32_e32 v60, v101, v60
	v_mul_f32_e32 v101, 0xbf7ee86f, v99
	v_fmac_f32_e32 v100, 0xbf7ee86f, v98
	v_add_f32_e32 v59, v100, v59
	v_fma_f32 v100, v97, s2, -v101
	v_mul_f32_e32 v90, 0xbf59a7d5, v90
	v_add_f32_e32 v61, v100, v61
	v_mov_b32_e32 v100, v90
	v_mul_f32_e32 v99, 0xbf06c442, v99
	v_fmac_f32_e32 v90, 0xbf06c442, v98
	v_fmac_f32_e32 v102, 0x3f6eb680, v97
	v_add_f32_e32 v33, v90, v33
	v_fma_f32 v90, v97, s11, -v99
	v_add_f32_e32 v58, v102, v58
	v_mov_b32_e32 v102, v101
	v_fmac_f32_e32 v100, 0x3f06c442, v98
	v_add_f32_e32 v32, v90, v32
	v_add_f32_e32 v90, v6, v24
	v_fmac_f32_e32 v102, 0x3dbcf732, v97
	v_add_f32_e32 v63, v100, v63
	v_mov_b32_e32 v100, v99
	v_mul_f32_e32 v99, 0x3dbcf732, v90
	v_add_f32_e32 v62, v102, v62
	v_fmac_f32_e32 v100, 0xbf59a7d5, v97
	v_sub_f32_e32 v103, v6, v24
	v_sub_f32_e32 v102, v7, v25
	v_mov_b32_e32 v104, v99
	v_add_f32_e32 v64, v100, v64
	v_add_f32_e32 v101, v7, v25
	v_mul_f32_e32 v100, 0xbf7ee86f, v103
	v_fmac_f32_e32 v104, 0xbf7ee86f, v102
	v_add_f32_e32 v37, v104, v37
	v_fma_f32 v104, v101, s2, -v100
	v_add_f32_e32 v38, v104, v38
	v_mul_f32_e32 v104, 0xbf7ba420, v90
	v_mov_b32_e32 v105, v104
	v_fmac_f32_e32 v105, 0x3e3c28d5, v102
	v_add_f32_e32 v40, v105, v40
	v_mul_f32_e32 v105, 0xbe3c28d5, v103
	v_fmac_f32_e32 v104, 0xbe3c28d5, v102
	v_add_f32_e32 v39, v104, v39
	v_fma_f32 v104, v101, s15, -v105
	v_add_f32_e32 v41, v104, v41
	v_mul_f32_e32 v104, 0xbe8c1d8e, v90
	v_mov_b32_e32 v106, v105
	v_mov_b32_e32 v105, v104
	v_fmac_f32_e32 v105, 0xbf763a35, v102
	v_add_f32_e32 v44, v105, v44
	v_mul_f32_e32 v105, 0x3f763a35, v103
	v_fmac_f32_e32 v104, 0x3f763a35, v102
	v_add_f32_e32 v43, v104, v43
	v_fma_f32 v104, v101, s3, -v105
	v_fmac_f32_e32 v106, 0xbf7ba420, v101
	v_add_f32_e32 v45, v104, v45
	v_mul_f32_e32 v104, 0x3f6eb680, v90
	v_add_f32_e32 v42, v106, v42
	v_mov_b32_e32 v106, v105
	v_mov_b32_e32 v105, v104
	v_fmac_f32_e32 v105, 0xbeb8f4ab, v102
	v_add_f32_e32 v48, v105, v48
	v_mul_f32_e32 v105, 0x3eb8f4ab, v103
	v_fmac_f32_e32 v104, 0x3eb8f4ab, v102
	v_add_f32_e32 v47, v104, v47
	v_fma_f32 v104, v101, s14, -v105
	v_fmac_f32_e32 v106, 0xbe8c1d8e, v101
	v_add_f32_e32 v49, v104, v49
	v_mul_f32_e32 v104, 0x3ee437d1, v90
	v_add_f32_e32 v46, v106, v46
	;; [unrolled: 12-line block ×4, first 2 shown]
	v_mov_b32_e32 v106, v105
	v_mov_b32_e32 v105, v104
	v_fmac_f32_e32 v105, 0xbf4c4adb, v102
	v_add_f32_e32 v60, v105, v60
	v_mul_f32_e32 v105, 0x3f4c4adb, v103
	v_fmac_f32_e32 v104, 0x3f4c4adb, v102
	v_add_f32_e32 v59, v104, v59
	v_fma_f32 v104, v101, s5, -v105
	v_mul_f32_e32 v90, 0x3f3d2fb0, v90
	v_add_f32_e32 v61, v104, v61
	v_mov_b32_e32 v104, v90
	v_mul_f32_e32 v103, 0x3f2c7751, v103
	v_fmac_f32_e32 v90, 0x3f2c7751, v102
	v_fmac_f32_e32 v106, 0xbf59a7d5, v101
	v_add_f32_e32 v33, v90, v33
	v_fma_f32 v90, v101, s10, -v103
	v_add_f32_e32 v58, v106, v58
	v_mov_b32_e32 v106, v105
	v_fmac_f32_e32 v104, 0xbf2c7751, v102
	v_add_f32_e32 v32, v90, v32
	v_add_f32_e32 v90, v8, v22
	v_fmac_f32_e32 v106, 0xbf1a4643, v101
	v_add_f32_e32 v63, v104, v63
	v_mov_b32_e32 v104, v103
	v_mul_f32_e32 v103, 0xbe8c1d8e, v90
	v_add_f32_e32 v62, v106, v62
	v_fmac_f32_e32 v104, 0x3f3d2fb0, v101
	v_sub_f32_e32 v107, v8, v22
	v_sub_f32_e32 v106, v9, v23
	v_mov_b32_e32 v108, v103
	v_add_f32_e32 v64, v104, v64
	v_add_f32_e32 v105, v9, v23
	v_mul_f32_e32 v104, 0xbf763a35, v107
	v_fmac_f32_e32 v108, 0xbf763a35, v106
	v_add_f32_e32 v37, v108, v37
	v_fma_f32 v108, v105, s3, -v104
	v_add_f32_e32 v38, v108, v38
	v_mul_f32_e32 v108, 0xbf59a7d5, v90
	v_mov_b32_e32 v109, v108
	v_fmac_f32_e32 v109, 0xbf06c442, v106
	v_add_f32_e32 v40, v109, v40
	v_mul_f32_e32 v109, 0x3f06c442, v107
	v_fmac_f32_e32 v108, 0x3f06c442, v106
	v_add_f32_e32 v39, v108, v39
	v_fma_f32 v108, v105, s11, -v109
	v_add_f32_e32 v41, v108, v41
	v_mul_f32_e32 v108, 0x3f3d2fb0, v90
	v_mov_b32_e32 v110, v109
	v_mov_b32_e32 v109, v108
	v_fmac_f32_e32 v109, 0xbf2c7751, v106
	v_add_f32_e32 v44, v109, v44
	v_mul_f32_e32 v109, 0x3f2c7751, v107
	v_fmac_f32_e32 v108, 0x3f2c7751, v106
	v_add_f32_e32 v43, v108, v43
	v_fma_f32 v108, v105, s10, -v109
	v_fmac_f32_e32 v110, 0xbf59a7d5, v105
	v_add_f32_e32 v45, v108, v45
	v_mul_f32_e32 v108, 0x3ee437d1, v90
	v_add_f32_e32 v42, v110, v42
	v_mov_b32_e32 v110, v109
	v_mov_b32_e32 v109, v108
	v_fmac_f32_e32 v109, 0x3f65296c, v106
	v_add_f32_e32 v48, v109, v48
	v_mul_f32_e32 v109, 0xbf65296c, v107
	v_fmac_f32_e32 v108, 0xbf65296c, v106
	v_add_f32_e32 v47, v108, v47
	v_fma_f32 v108, v105, s4, -v109
	v_fmac_f32_e32 v110, 0x3f3d2fb0, v105
	v_add_f32_e32 v49, v108, v49
	v_mul_f32_e32 v108, 0xbf7ba420, v90
	v_add_f32_e32 v46, v110, v46
	;; [unrolled: 12-line block ×4, first 2 shown]
	v_mov_b32_e32 v110, v109
	v_mov_b32_e32 v109, v108
	v_fmac_f32_e32 v109, 0x3eb8f4ab, v106
	v_add_f32_e32 v60, v109, v60
	v_mul_f32_e32 v109, 0xbeb8f4ab, v107
	v_fmac_f32_e32 v108, 0xbeb8f4ab, v106
	v_add_f32_e32 v59, v108, v59
	v_fma_f32 v108, v105, s14, -v109
	v_mul_f32_e32 v90, 0xbf1a4643, v90
	v_add_f32_e32 v61, v108, v61
	v_mov_b32_e32 v108, v90
	v_mul_f32_e32 v107, 0xbf4c4adb, v107
	v_fmac_f32_e32 v90, 0xbf4c4adb, v106
	v_fmac_f32_e32 v110, 0x3dbcf732, v105
	v_add_f32_e32 v33, v90, v33
	v_fma_f32 v90, v105, s5, -v107
	v_add_f32_e32 v58, v110, v58
	v_mov_b32_e32 v110, v109
	v_fmac_f32_e32 v108, 0x3f4c4adb, v106
	v_add_f32_e32 v32, v90, v32
	v_add_f32_e32 v90, v10, v20
	v_fmac_f32_e32 v110, 0x3f6eb680, v105
	v_add_f32_e32 v63, v108, v63
	v_mov_b32_e32 v108, v107
	v_mul_f32_e32 v107, 0xbf1a4643, v90
	v_add_f32_e32 v62, v110, v62
	v_fmac_f32_e32 v108, 0xbf1a4643, v105
	v_sub_f32_e32 v111, v10, v20
	v_sub_f32_e32 v110, v11, v21
	v_mov_b32_e32 v112, v107
	v_add_f32_e32 v64, v108, v64
	v_add_f32_e32 v109, v11, v21
	v_mul_f32_e32 v108, 0xbf4c4adb, v111
	v_fmac_f32_e32 v112, 0xbf4c4adb, v110
	v_add_f32_e32 v37, v112, v37
	v_fma_f32 v112, v109, s5, -v108
	v_add_f32_e32 v38, v112, v38
	v_mul_f32_e32 v112, 0xbe8c1d8e, v90
	v_mov_b32_e32 v113, v112
	v_fmac_f32_e32 v113, 0xbf763a35, v110
	v_add_f32_e32 v40, v113, v40
	v_mul_f32_e32 v113, 0x3f763a35, v111
	v_fmac_f32_e32 v112, 0x3f763a35, v110
	v_add_f32_e32 v39, v112, v39
	v_fma_f32 v112, v109, s3, -v113
	v_add_f32_e32 v41, v112, v41
	v_mul_f32_e32 v112, 0x3f6eb680, v90
	v_mov_b32_e32 v114, v113
	v_mov_b32_e32 v113, v112
	v_fmac_f32_e32 v113, 0x3eb8f4ab, v110
	v_add_f32_e32 v44, v113, v44
	v_mul_f32_e32 v113, 0xbeb8f4ab, v111
	v_fmac_f32_e32 v112, 0xbeb8f4ab, v110
	v_add_f32_e32 v43, v112, v43
	v_fma_f32 v112, v109, s14, -v113
	v_fmac_f32_e32 v114, 0xbe8c1d8e, v109
	v_add_f32_e32 v45, v112, v45
	v_mul_f32_e32 v112, 0xbf59a7d5, v90
	v_add_f32_e32 v42, v114, v42
	v_mov_b32_e32 v114, v113
	v_mov_b32_e32 v113, v112
	v_fmac_f32_e32 v113, 0x3f06c442, v110
	v_add_f32_e32 v48, v113, v48
	v_mul_f32_e32 v113, 0xbf06c442, v111
	v_fmac_f32_e32 v112, 0xbf06c442, v110
	v_add_f32_e32 v47, v112, v47
	v_fma_f32 v112, v109, s11, -v113
	v_fmac_f32_e32 v114, 0x3f6eb680, v109
	v_add_f32_e32 v49, v112, v49
	v_mul_f32_e32 v112, 0x3dbcf732, v90
	v_add_f32_e32 v46, v114, v46
	v_mov_b32_e32 v114, v113
	v_mov_b32_e32 v113, v112
	v_fmac_f32_e32 v113, 0xbf7ee86f, v110
	v_add_f32_e32 v52, v113, v52
	v_mul_f32_e32 v113, 0x3f7ee86f, v111
	v_fmac_f32_e32 v112, 0x3f7ee86f, v110
	v_add_f32_e32 v51, v112, v51
	v_fma_f32 v112, v109, s2, -v113
	v_fmac_f32_e32 v114, 0xbf59a7d5, v109
	v_add_f32_e32 v53, v112, v53
	v_mul_f32_e32 v112, 0x3f3d2fb0, v90
	v_add_f32_e32 v50, v114, v50
	v_mov_b32_e32 v114, v113
	v_mov_b32_e32 v113, v112
	v_fmac_f32_e32 v113, 0x3f2c7751, v110
	v_add_f32_e32 v56, v113, v56
	v_mul_f32_e32 v113, 0xbf2c7751, v111
	v_fmac_f32_e32 v112, 0xbf2c7751, v110
	v_add_f32_e32 v55, v112, v55
	v_fma_f32 v112, v109, s10, -v113
	v_fmac_f32_e32 v114, 0x3dbcf732, v109
	v_add_f32_e32 v57, v112, v57
	v_mul_f32_e32 v112, 0xbf7ba420, v90
	v_add_f32_e32 v54, v114, v54
	v_mov_b32_e32 v114, v113
	v_mov_b32_e32 v113, v112
	v_fmac_f32_e32 v113, 0x3e3c28d5, v110
	v_add_f32_e32 v60, v113, v60
	v_mul_f32_e32 v113, 0xbe3c28d5, v111
	v_fmac_f32_e32 v112, 0xbe3c28d5, v110
	v_add_f32_e32 v59, v112, v59
	v_fma_f32 v112, v109, s15, -v113
	v_mul_f32_e32 v90, 0x3ee437d1, v90
	v_add_f32_e32 v61, v112, v61
	v_mov_b32_e32 v112, v90
	v_mul_f32_e32 v111, 0x3f65296c, v111
	v_fmac_f32_e32 v90, 0x3f65296c, v110
	v_fmac_f32_e32 v114, 0x3f3d2fb0, v109
	v_add_f32_e32 v33, v90, v33
	v_fma_f32 v90, v109, s4, -v111
	v_add_f32_e32 v58, v114, v58
	v_mov_b32_e32 v114, v113
	v_fmac_f32_e32 v112, 0xbf65296c, v110
	v_add_f32_e32 v32, v90, v32
	v_add_f32_e32 v90, v12, v18
	v_fmac_f32_e32 v114, 0xbf7ba420, v109
	v_add_f32_e32 v63, v112, v63
	v_mov_b32_e32 v112, v111
	v_mul_f32_e32 v111, 0xbf59a7d5, v90
	v_add_f32_e32 v62, v114, v62
	v_fmac_f32_e32 v112, 0x3ee437d1, v109
	v_sub_f32_e32 v115, v12, v18
	v_sub_f32_e32 v114, v13, v19
	v_mov_b32_e32 v116, v111
	v_add_f32_e32 v64, v112, v64
	v_add_f32_e32 v113, v13, v19
	v_mul_f32_e32 v112, 0xbf06c442, v115
	v_fmac_f32_e32 v116, 0xbf06c442, v114
	v_add_f32_e32 v37, v116, v37
	v_fma_f32 v116, v113, s11, -v112
	v_add_f32_e32 v38, v116, v38
	v_mul_f32_e32 v116, 0x3ee437d1, v90
	v_mov_b32_e32 v117, v116
	v_fmac_f32_e32 v117, 0xbf65296c, v114
	v_add_f32_e32 v40, v117, v40
	v_mul_f32_e32 v117, 0x3f65296c, v115
	v_fmac_f32_e32 v116, 0x3f65296c, v114
	v_add_f32_e32 v39, v116, v39
	v_fma_f32 v116, v113, s4, -v117
	v_add_f32_e32 v41, v116, v41
	v_mul_f32_e32 v116, 0x3dbcf732, v90
	v_mov_b32_e32 v118, v117
	v_mov_b32_e32 v117, v116
	v_fmac_f32_e32 v117, 0x3f7ee86f, v114
	v_add_f32_e32 v44, v117, v44
	v_mul_f32_e32 v117, 0xbf7ee86f, v115
	v_fmac_f32_e32 v116, 0xbf7ee86f, v114
	v_add_f32_e32 v43, v116, v43
	v_fma_f32 v116, v113, s2, -v117
	v_fmac_f32_e32 v118, 0x3ee437d1, v113
	v_add_f32_e32 v45, v116, v45
	v_mul_f32_e32 v116, 0xbf1a4643, v90
	v_add_f32_e32 v42, v118, v42
	v_mov_b32_e32 v118, v117
	v_mov_b32_e32 v117, v116
	v_fmac_f32_e32 v117, 0xbf4c4adb, v114
	v_add_f32_e32 v48, v117, v48
	v_mul_f32_e32 v117, 0x3f4c4adb, v115
	v_fmac_f32_e32 v116, 0x3f4c4adb, v114
	v_add_f32_e32 v47, v116, v47
	v_fma_f32 v116, v113, s5, -v117
	v_fmac_f32_e32 v118, 0x3dbcf732, v113
	v_add_f32_e32 v49, v116, v49
	v_mul_f32_e32 v116, 0x3f6eb680, v90
	v_add_f32_e32 v46, v118, v46
	v_mov_b32_e32 v118, v117
	v_mov_b32_e32 v117, v116
	v_fmac_f32_e32 v117, 0x3eb8f4ab, v114
	v_add_f32_e32 v120, v117, v52
	v_mul_f32_e32 v52, 0xbeb8f4ab, v115
	v_fmac_f32_e32 v116, 0xbeb8f4ab, v114
	v_mov_b32_e32 v117, v52
	v_add_f32_e32 v51, v116, v51
	v_fma_f32 v52, v113, s14, -v52
	v_mul_f32_e32 v116, 0xbf7ba420, v90
	v_add_f32_e32 v52, v52, v53
	v_mov_b32_e32 v53, v116
	v_fmac_f32_e32 v53, 0x3e3c28d5, v114
	v_fmac_f32_e32 v117, 0x3f6eb680, v113
	v_add_f32_e32 v53, v53, v56
	v_mul_f32_e32 v56, 0xbe3c28d5, v115
	v_fmac_f32_e32 v116, 0xbe3c28d5, v114
	v_add_f32_e32 v121, v117, v54
	v_mov_b32_e32 v54, v56
	v_add_f32_e32 v55, v116, v55
	v_fma_f32 v56, v113, s15, -v56
	v_mul_f32_e32 v116, 0x3f3d2fb0, v90
	v_add_f32_e32 v56, v56, v57
	v_mov_b32_e32 v57, v116
	v_fmac_f32_e32 v57, 0xbf2c7751, v114
	v_fmac_f32_e32 v54, 0xbf7ba420, v113
	v_add_f32_e32 v57, v57, v60
	v_mul_f32_e32 v60, 0x3f2c7751, v115
	v_add_f32_e32 v54, v54, v58
	v_mov_b32_e32 v58, v60
	v_fma_f32 v60, v113, s10, -v60
	v_mul_f32_e32 v90, 0xbe8c1d8e, v90
	v_fmac_f32_e32 v58, 0x3f3d2fb0, v113
	v_add_f32_e32 v60, v60, v61
	v_mov_b32_e32 v61, v90
	v_mul_f32_e32 v115, 0xbf763a35, v115
	v_add_f32_e32 v58, v58, v62
	v_fmac_f32_e32 v61, 0x3f763a35, v114
	v_mov_b32_e32 v62, v115
	v_fmac_f32_e32 v90, 0xbf763a35, v114
	v_add_f32_e32 v119, v14, v16
	v_fmac_f32_e32 v118, 0xbf1a4643, v113
	v_add_f32_e32 v61, v61, v63
	;; [unrolled: 2-line block ×3, first 2 shown]
	v_fma_f32 v33, v113, s3, -v115
	v_mul_f32_e32 v115, 0xbf7ba420, v119
	v_add_f32_e32 v50, v118, v50
	v_add_f32_e32 v62, v62, v64
	;; [unrolled: 1-line block ×3, first 2 shown]
	v_sub_f32_e32 v118, v15, v17
	v_mov_b32_e32 v32, v115
	v_fmac_f32_e32 v32, 0xbe3c28d5, v118
	v_mul_f32_e32 v122, 0x3f6eb680, v119
	v_fmac_f32_e32 v116, 0x3f2c7751, v114
	v_sub_f32_e32 v90, v14, v16
	v_add_f32_e32 v32, v32, v37
	v_mov_b32_e32 v37, v122
	v_add_f32_e32 v59, v116, v59
	v_add_f32_e32 v117, v15, v17
	v_mul_f32_e32 v116, 0xbe3c28d5, v90
	v_fmac_f32_e32 v37, 0xbeb8f4ab, v118
	v_fma_f32 v33, v117, s15, -v116
	v_add_f32_e32 v37, v37, v40
	v_mul_f32_e32 v40, 0x3eb8f4ab, v90
	v_fmac_f32_e32 v122, 0x3eb8f4ab, v118
	v_add_f32_e32 v33, v33, v38
	v_mov_b32_e32 v38, v40
	v_add_f32_e32 v39, v122, v39
	v_fma_f32 v40, v117, s14, -v40
	v_mul_f32_e32 v122, 0xbf59a7d5, v119
	v_add_f32_e32 v40, v40, v41
	v_mov_b32_e32 v41, v122
	v_fmac_f32_e32 v41, 0x3f06c442, v118
	v_fmac_f32_e32 v38, 0x3f6eb680, v117
	v_add_f32_e32 v41, v41, v44
	v_mul_f32_e32 v44, 0xbf06c442, v90
	v_fmac_f32_e32 v122, 0xbf06c442, v118
	v_add_f32_e32 v38, v38, v42
	v_mov_b32_e32 v42, v44
	v_add_f32_e32 v43, v122, v43
	v_fma_f32 v44, v117, s11, -v44
	v_mul_f32_e32 v122, 0x3f3d2fb0, v119
	v_add_f32_e32 v44, v44, v45
	v_mov_b32_e32 v45, v122
	v_fmac_f32_e32 v45, 0xbf2c7751, v118
	v_fmac_f32_e32 v42, 0xbf59a7d5, v117
	;; [unrolled: 12-line block ×3, first 2 shown]
	v_add_f32_e32 v49, v49, v120
	v_mul_f32_e32 v120, 0xbf4c4adb, v90
	v_add_f32_e32 v46, v46, v50
	v_mov_b32_e32 v50, v120
	v_fma_f32 v120, v117, s5, -v120
	v_fmac_f32_e32 v50, 0xbf1a4643, v117
	v_add_f32_e32 v52, v120, v52
	v_mul_f32_e32 v120, 0x3ee437d1, v119
	v_add_f32_e32 v50, v50, v121
	v_mov_b32_e32 v121, v120
	v_fmac_f32_e32 v121, 0xbf65296c, v118
	v_add_f32_e32 v53, v121, v53
	v_mul_f32_e32 v121, 0x3f65296c, v90
	v_fmac_f32_e32 v120, 0x3f65296c, v118
	v_add_f32_e32 v55, v120, v55
	v_fma_f32 v120, v117, s4, -v121
	v_fmac_f32_e32 v122, 0xbf4c4adb, v118
	v_add_f32_e32 v56, v120, v56
	v_mul_f32_e32 v120, 0xbe8c1d8e, v119
	v_add_f32_e32 v51, v122, v51
	v_mov_b32_e32 v122, v121
	v_mov_b32_e32 v121, v120
	v_fmac_f32_e32 v121, 0x3f763a35, v118
	v_add_f32_e32 v57, v121, v57
	v_mul_f32_e32 v121, 0xbf763a35, v90
	v_fmac_f32_e32 v120, 0xbf763a35, v118
	v_add_f32_e32 v59, v120, v59
	v_fma_f32 v120, v117, s3, -v121
	v_mul_f32_e32 v119, 0x3dbcf732, v119
	v_add_f32_e32 v60, v120, v60
	v_mov_b32_e32 v120, v119
	v_fmac_f32_e32 v122, 0x3ee437d1, v117
	v_fmac_f32_e32 v120, 0xbf7ee86f, v118
	v_mul_f32_e32 v90, 0x3f7ee86f, v90
	v_add_f32_e32 v54, v122, v54
	v_mov_b32_e32 v122, v121
	v_add_f32_e32 v61, v120, v61
	v_mov_b32_e32 v120, v90
	v_fmac_f32_e32 v122, 0xbe8c1d8e, v117
	v_fmac_f32_e32 v120, 0x3dbcf732, v117
	v_fmac_f32_e32 v119, 0x3f7ee86f, v118
	v_fma_f32 v90, v117, s2, -v90
	v_add_f32_e32 v58, v122, v58
	v_add_f32_e32 v62, v120, v62
	v_add_f32_e32 v63, v119, v63
	v_add_f32_e32 v64, v90, v64
	v_mul_lo_u16_e32 v90, 17, v83
	s_barrier
	s_and_saveexec_b64 s[2:3], vcc
	s_cbranch_execz .LBB0_7
; %bb.6:
	v_add_f32_e32 v1, v1, v36
	v_add_f32_e32 v0, v0, v35
	;; [unrolled: 1-line block ×12, first 2 shown]
	v_mul_f32_e32 v88, 0x3f6eb680, v88
	v_mul_f32_e32 v89, 0x3f6eb680, v89
	v_add_f32_e32 v1, v13, v1
	v_add_f32_e32 v0, v12, v0
	v_mul_f32_e32 v94, 0xbf2c7751, v94
	v_mul_f32_e32 v93, 0x3f3d2fb0, v93
	v_add_f32_e32 v87, v87, v89
	v_sub_f32_e32 v86, v88, v86
	v_add_f32_e32 v1, v15, v1
	v_add_f32_e32 v0, v14, v0
	v_mul_f32_e32 v98, 0xbf65296c, v98
	v_mul_f32_e32 v97, 0x3ee437d1, v97
	v_add_f32_e32 v87, v87, v36
	v_add_f32_e32 v89, v93, v92
	v_add_f32_e32 v86, v86, v35
	v_sub_f32_e32 v88, v91, v94
	v_add_f32_e32 v1, v17, v1
	v_add_f32_e32 v0, v16, v0
	v_mul_f32_e32 v102, 0xbf7ee86f, v102
	v_mul_f32_e32 v101, 0x3dbcf732, v101
	v_add_f32_e32 v87, v89, v87
	v_add_f32_e32 v89, v97, v96
	;; [unrolled: 8-line block ×6, first 2 shown]
	v_add_f32_e32 v86, v88, v86
	v_sub_f32_e32 v88, v111, v114
	v_add_f32_e32 v1, v27, v1
	v_add_f32_e32 v0, v26, v0
	;; [unrolled: 1-line block ×5, first 2 shown]
	v_sub_f32_e32 v88, v115, v118
	v_add_f32_e32 v1, v29, v1
	v_add_f32_e32 v0, v28, v0
	;; [unrolled: 1-line block ×6, first 2 shown]
	v_add_lshl_u32 v2, v82, v90, 3
	ds_write2_b64 v2, v[0:1], v[86:87] offset1:1
	ds_write2_b64 v2, v[37:38], v[41:42] offset0:2 offset1:3
	ds_write2_b64 v2, v[45:46], v[49:50] offset0:4 offset1:5
	;; [unrolled: 1-line block ×7, first 2 shown]
	ds_write_b64 v2, v[32:33] offset:128
.LBB0_7:
	s_or_b64 exec, exec, s[2:3]
	s_load_dwordx4 s[0:3], s[0:1], 0x0
	s_waitcnt lgkmcnt(0)
	s_barrier
	global_load_dwordx2 v[4:5], v66, s[8:9]
	v_add_lshl_u32 v17, v82, v83, 3
	ds_read2_b64 v[6:9], v17 offset1:17
	v_lshl_add_u32 v16, v83, 3, v85
	s_waitcnt vmcnt(0) lgkmcnt(0)
	v_mul_f32_e32 v0, v9, v5
	v_mul_f32_e32 v1, v8, v5
	v_fma_f32 v0, v8, v4, -v0
	v_fmac_f32_e32 v1, v9, v4
	v_sub_f32_e32 v0, v6, v0
	v_sub_f32_e32 v1, v7, v1
	v_fma_f32 v6, v6, 2.0, -v0
	v_fma_f32 v7, v7, 2.0, -v1
	ds_write2_b64 v16, v[6:7], v[0:1] offset1:17
	s_waitcnt lgkmcnt(0)
	s_barrier
	s_and_saveexec_b64 s[4:5], vcc
	s_cbranch_execz .LBB0_9
; %bb.8:
	global_load_dwordx2 v[8:9], v66, s[6:7] offset:272
	ds_read_b64 v[2:3], v84
	s_add_u32 s8, s6, 0x110
	s_addc_u32 s9, s7, 0
	s_waitcnt vmcnt(0) lgkmcnt(0)
	v_mul_f32_e32 v10, v3, v9
	v_mul_f32_e32 v11, v2, v9
	v_fma_f32 v10, v2, v8, -v10
	v_fmac_f32_e32 v11, v3, v8
	ds_write_b64 v84, v[10:11]
	ds_read2_b64 v[8:11], v16 offset0:2 offset1:4
	ds_read2_b64 v[12:15], v16 offset0:6 offset1:8
	global_load_dwordx2 v[2:3], v66, s[8:9] offset:16
	s_waitcnt vmcnt(0) lgkmcnt(1)
	v_mul_f32_e32 v18, v9, v3
	v_mul_f32_e32 v19, v8, v3
	v_fma_f32 v18, v8, v2, -v18
	v_fmac_f32_e32 v19, v9, v2
	global_load_dwordx2 v[2:3], v66, s[8:9] offset:32
	s_waitcnt vmcnt(0)
	v_mul_f32_e32 v8, v11, v3
	v_mul_f32_e32 v9, v10, v3
	v_fma_f32 v8, v10, v2, -v8
	v_fmac_f32_e32 v9, v11, v2
	global_load_dwordx2 v[2:3], v66, s[8:9] offset:48
	ds_write2_b64 v16, v[18:19], v[8:9] offset0:2 offset1:4
	s_waitcnt vmcnt(0) lgkmcnt(1)
	v_mul_f32_e32 v8, v13, v3
	v_mul_f32_e32 v9, v12, v3
	v_fma_f32 v8, v12, v2, -v8
	v_fmac_f32_e32 v9, v13, v2
	global_load_dwordx2 v[2:3], v66, s[8:9] offset:64
	s_waitcnt vmcnt(0)
	v_mul_f32_e32 v10, v15, v3
	v_mul_f32_e32 v11, v14, v3
	v_fma_f32 v10, v14, v2, -v10
	v_fmac_f32_e32 v11, v15, v2
	global_load_dwordx2 v[2:3], v66, s[8:9] offset:80
	ds_write2_b64 v16, v[8:9], v[10:11] offset0:6 offset1:8
	ds_read2_b64 v[8:11], v16 offset0:10 offset1:12
	s_waitcnt vmcnt(0) lgkmcnt(0)
	v_mul_f32_e32 v12, v9, v3
	v_mul_f32_e32 v13, v8, v3
	v_fma_f32 v12, v8, v2, -v12
	v_fmac_f32_e32 v13, v9, v2
	global_load_dwordx2 v[2:3], v66, s[8:9] offset:96
	s_waitcnt vmcnt(0)
	v_mul_f32_e32 v8, v11, v3
	v_mul_f32_e32 v9, v10, v3
	v_fma_f32 v8, v10, v2, -v8
	v_fmac_f32_e32 v9, v11, v2
	global_load_dwordx2 v[2:3], v66, s[8:9] offset:112
	ds_write2_b64 v16, v[12:13], v[8:9] offset0:10 offset1:12
	ds_read2_b64 v[8:11], v16 offset0:14 offset1:16
	;; [unrolled: 14-line block ×6, first 2 shown]
	s_waitcnt vmcnt(0) lgkmcnt(0)
	v_mul_f32_e32 v12, v9, v3
	v_mul_f32_e32 v13, v8, v3
	v_fma_f32 v12, v8, v2, -v12
	v_fmac_f32_e32 v13, v9, v2
	global_load_dwordx2 v[2:3], v66, s[8:9] offset:256
	s_waitcnt vmcnt(0)
	v_mul_f32_e32 v8, v11, v3
	v_mul_f32_e32 v9, v10, v3
	v_fma_f32 v8, v10, v2, -v8
	v_fmac_f32_e32 v9, v11, v2
	ds_write2_b64 v16, v[12:13], v[8:9] offset0:30 offset1:32
.LBB0_9:
	s_or_b64 exec, exec, s[4:5]
	s_waitcnt lgkmcnt(0)
	s_barrier
	s_and_saveexec_b64 s[4:5], vcc
	s_cbranch_execz .LBB0_11
; %bb.10:
	ds_read_b64 v[6:7], v84
	ds_read2_b64 v[0:3], v16 offset0:2 offset1:4
	ds_read2_b64 v[8:11], v16 offset0:6 offset1:8
	;; [unrolled: 1-line block ×8, first 2 shown]
	s_waitcnt lgkmcnt(7)
	v_mov_b32_e32 v38, v3
	v_mov_b32_e32 v37, v2
	s_waitcnt lgkmcnt(6)
	v_mov_b32_e32 v42, v9
	v_mov_b32_e32 v41, v8
	v_mov_b32_e32 v46, v11
	v_mov_b32_e32 v45, v10
	s_waitcnt lgkmcnt(5)
	v_mov_b32_e32 v50, v13
	v_mov_b32_e32 v49, v12
	;; [unrolled: 5-line block ×4, first 2 shown]
	v_mov_b32_e32 v44, v89
	v_mov_b32_e32 v43, v88
	;; [unrolled: 1-line block ×12, first 2 shown]
.LBB0_11:
	s_or_b64 exec, exec, s[4:5]
	s_barrier
	s_and_saveexec_b64 s[4:5], vcc
	s_cbranch_execz .LBB0_13
; %bb.12:
	v_add_f32_e32 v113, v33, v1
	v_mul_f32_e32 v86, 0xbf7ba420, v113
	v_sub_f32_e32 v18, v0, v32
	v_mov_b32_e32 v2, v86
	v_sub_f32_e32 v116, v37, v39
	v_fmac_f32_e32 v2, 0x3e3c28d5, v18
	v_add_f32_e32 v19, v38, v40
	v_mul_f32_e32 v87, 0x3eb8f4ab, v116
	s_mov_b32 s10, 0x3f6eb680
	v_sub_f32_e32 v118, v41, v43
	v_add_f32_e32 v2, v7, v2
	v_fma_f32 v3, v19, s10, -v87
	v_add_f32_e32 v20, v42, v44
	v_mul_f32_e32 v89, 0xbf06c442, v118
	s_mov_b32 s9, 0xbf59a7d5
	v_sub_f32_e32 v121, v45, v47
	v_add_f32_e32 v2, v3, v2
	v_fma_f32 v3, v20, s9, -v89
	;; [unrolled: 6-line block ×7, first 2 shown]
	v_mul_f32_e32 v95, 0xbe3c28d5, v134
	v_sub_f32_e32 v135, v38, v40
	v_add_f32_e32 v3, v3, v2
	v_add_f32_e32 v26, v32, v0
	v_mov_b32_e32 v2, v95
	v_mul_f32_e32 v96, 0x3eb8f4ab, v135
	v_fmac_f32_e32 v2, 0xbf7ba420, v26
	v_add_f32_e32 v27, v37, v39
	v_mov_b32_e32 v8, v96
	v_sub_f32_e32 v136, v42, v44
	v_add_f32_e32 v2, v6, v2
	v_fmac_f32_e32 v8, 0x3f6eb680, v27
	v_mul_f32_e32 v97, 0xbf06c442, v136
	v_add_f32_e32 v2, v8, v2
	v_add_f32_e32 v28, v41, v43
	v_mov_b32_e32 v8, v97
	v_sub_f32_e32 v137, v46, v48
	v_fmac_f32_e32 v8, 0xbf59a7d5, v28
	v_mul_f32_e32 v99, 0x3f2c7751, v137
	v_add_f32_e32 v2, v8, v2
	v_add_f32_e32 v29, v45, v47
	v_mov_b32_e32 v8, v99
	v_sub_f32_e32 v138, v50, v52
	;; [unrolled: 6-line block ×5, first 2 shown]
	v_fmac_f32_e32 v8, 0xbe8c1d8e, v35
	v_mul_f32_e32 v104, 0x3f7ee86f, v140
	v_add_f32_e32 v2, v8, v2
	v_add_f32_e32 v36, v61, v63
	v_mov_b32_e32 v8, v104
	v_fmac_f32_e32 v8, 0x3dbcf732, v36
	v_mul_f32_e32 v105, 0xbf59a7d5, v113
	v_add_f32_e32 v2, v8, v2
	v_mov_b32_e32 v8, v105
	v_fmac_f32_e32 v8, 0x3f06c442, v18
	v_mul_f32_e32 v106, 0x3f65296c, v116
	v_add_f32_e32 v8, v7, v8
	v_fma_f32 v9, v19, s15, -v106
	v_mul_f32_e32 v107, 0xbf7ee86f, v118
	v_add_f32_e32 v8, v9, v8
	v_fma_f32 v9, v20, s17, -v107
	;; [unrolled: 3-line block ×3, first 2 shown]
	v_mul_f32_e32 v109, 0xbeb8f4ab, v131
	s_mov_b32 s8, 0xbf7ba420
	v_add_f32_e32 v8, v9, v8
	v_fma_f32 v9, v22, s10, -v109
	v_mul_f32_e32 v110, 0xbe3c28d5, v132
	v_add_f32_e32 v8, v9, v8
	v_fma_f32 v9, v23, s8, -v110
	v_mul_f32_e32 v111, 0x3f2c7751, v133
	;; [unrolled: 3-line block ×4, first 2 shown]
	v_add_f32_e32 v9, v9, v8
	v_mov_b32_e32 v8, v112
	v_mul_f32_e32 v114, 0x3f65296c, v135
	v_fmac_f32_e32 v8, 0xbf59a7d5, v26
	v_mov_b32_e32 v10, v114
	v_add_f32_e32 v8, v6, v8
	v_fmac_f32_e32 v10, 0x3ee437d1, v27
	v_mul_f32_e32 v115, 0xbf7ee86f, v136
	v_add_f32_e32 v8, v10, v8
	v_mov_b32_e32 v10, v115
	v_fmac_f32_e32 v10, 0x3dbcf732, v28
	v_mul_f32_e32 v117, 0x3f4c4adb, v137
	v_add_f32_e32 v8, v10, v8
	v_mov_b32_e32 v10, v117
	;; [unrolled: 4-line block ×4, first 2 shown]
	v_mul_f32_e32 v142, 0xbf4c4adb, v134
	v_fmac_f32_e32 v10, 0xbf7ba420, v31
	v_mul_f32_e32 v122, 0x3f2c7751, v141
	v_add_f32_e32 v13, v0, v6
	v_mov_b32_e32 v0, v142
	v_mul_f32_e32 v143, 0x3f763a35, v135
	v_add_f32_e32 v8, v10, v8
	v_mov_b32_e32 v10, v122
	v_add_f32_e32 v12, v1, v7
	v_fmac_f32_e32 v0, 0xbf1a4643, v26
	v_mov_b32_e32 v1, v143
	v_fmac_f32_e32 v10, 0x3f3d2fb0, v35
	v_mul_f32_e32 v123, 0xbf763a35, v140
	v_add_f32_e32 v0, v6, v0
	v_fmac_f32_e32 v1, 0xbe8c1d8e, v27
	v_mul_f32_e32 v144, 0xbeb8f4ab, v136
	v_add_f32_e32 v8, v10, v8
	v_mov_b32_e32 v10, v123
	v_add_f32_e32 v0, v1, v0
	v_mov_b32_e32 v1, v144
	v_fmac_f32_e32 v10, 0xbe8c1d8e, v36
	v_mul_f32_e32 v124, 0xbf1a4643, v113
	v_fmac_f32_e32 v1, 0x3f6eb680, v28
	v_mul_f32_e32 v145, 0xbf06c442, v137
	v_add_f32_e32 v8, v10, v8
	v_mov_b32_e32 v10, v124
	v_add_f32_e32 v0, v1, v0
	v_mov_b32_e32 v1, v145
	v_fmac_f32_e32 v10, 0x3f4c4adb, v18
	v_mul_f32_e32 v125, 0x3f763a35, v116
	v_fmac_f32_e32 v1, 0xbf59a7d5, v29
	v_mul_f32_e32 v146, 0x3f7ee86f, v138
	v_add_f32_e32 v10, v7, v10
	v_fma_f32 v11, v19, s16, -v125
	v_mul_f32_e32 v126, 0xbeb8f4ab, v118
	v_add_f32_e32 v0, v1, v0
	v_mov_b32_e32 v1, v146
	v_add_f32_e32 v10, v11, v10
	v_fma_f32 v11, v20, s10, -v126
	v_mul_f32_e32 v127, 0xbf06c442, v121
	v_fmac_f32_e32 v1, 0x3dbcf732, v30
	v_mul_f32_e32 v147, 0xbf2c7751, v139
	v_add_f32_e32 v10, v11, v10
	v_fma_f32 v11, v21, s9, -v127
	v_mul_f32_e32 v128, 0x3f7ee86f, v131
	v_add_f32_e32 v0, v1, v0
	v_mov_b32_e32 v1, v147
	v_add_f32_e32 v10, v11, v10
	v_fma_f32 v11, v22, s17, -v128
	;; [unrolled: 10-line block ×3, first 2 shown]
	v_fmac_f32_e32 v1, 0xbf7ba420, v35
	v_mul_f32_e32 v149, 0x3f65296c, v102
	v_add_f32_e32 v10, v11, v10
	v_add_f32_e32 v0, v1, v0
	v_fma_f32 v1, v25, s15, -v149
	v_mul_f32_e32 v150, 0x3f65296c, v140
	v_add_f32_e32 v1, v1, v10
	v_mov_b32_e32 v10, v150
	v_fmac_f32_e32 v10, 0x3ee437d1, v36
	v_mul_f32_e32 v151, 0xbe8c1d8e, v113
	v_add_f32_e32 v0, v10, v0
	v_mov_b32_e32 v10, v151
	v_fmac_f32_e32 v10, 0x3f763a35, v18
	v_mul_f32_e32 v152, 0x3f06c442, v116
	v_add_f32_e32 v10, v7, v10
	v_fma_f32 v11, v19, s9, -v152
	v_mul_f32_e32 v153, 0x3f2c7751, v118
	v_add_f32_e32 v10, v11, v10
	v_fma_f32 v11, v20, s14, -v153
	;; [unrolled: 3-line block ×6, first 2 shown]
	v_mul_f32_e32 v158, 0xbf763a35, v134
	v_add_f32_e32 v10, v11, v10
	v_mov_b32_e32 v11, v158
	v_mul_f32_e32 v159, 0x3f06c442, v135
	v_fmac_f32_e32 v11, 0xbe8c1d8e, v26
	v_mov_b32_e32 v14, v159
	v_add_f32_e32 v11, v6, v11
	v_fmac_f32_e32 v14, 0xbf59a7d5, v27
	v_mul_f32_e32 v160, 0x3f2c7751, v136
	v_add_f32_e32 v11, v14, v11
	v_mov_b32_e32 v14, v160
	v_add_f32_e32 v13, v37, v13
	v_fmac_f32_e32 v14, 0x3f3d2fb0, v28
	v_mul_f32_e32 v161, 0xbf65296c, v137
	v_add_f32_e32 v12, v38, v12
	v_add_f32_e32 v13, v41, v13
	v_add_f32_e32 v11, v14, v11
	v_mov_b32_e32 v14, v161
	v_add_f32_e32 v12, v42, v12
	v_add_f32_e32 v13, v45, v13
	v_fmac_f32_e32 v14, 0x3ee437d1, v29
	v_mul_f32_e32 v162, 0xbe3c28d5, v138
	v_add_f32_e32 v12, v46, v12
	v_add_f32_e32 v13, v49, v13
	v_add_f32_e32 v11, v14, v11
	v_mov_b32_e32 v14, v162
	v_add_f32_e32 v12, v50, v12
	;; [unrolled: 8-line block ×4, first 2 shown]
	v_add_f32_e32 v13, v59, v13
	v_fmac_f32_e32 v14, 0x3f6eb680, v35
	v_mul_f32_e32 v165, 0xbf4c4adb, v102
	v_add_f32_e32 v12, v60, v12
	v_add_f32_e32 v13, v55, v13
	;; [unrolled: 1-line block ×3, first 2 shown]
	v_fma_f32 v11, v25, s11, -v165
	v_mul_f32_e32 v166, 0xbf4c4adb, v140
	v_add_f32_e32 v12, v56, v12
	v_add_f32_e32 v13, v51, v13
	;; [unrolled: 1-line block ×3, first 2 shown]
	v_mov_b32_e32 v10, v166
	v_add_f32_e32 v12, v52, v12
	v_add_f32_e32 v13, v47, v13
	v_fmac_f32_e32 v10, 0xbf1a4643, v36
	v_add_f32_e32 v12, v48, v12
	v_add_f32_e32 v13, v43, v13
	v_mul_f32_e32 v49, 0x3dbcf732, v113
	v_add_f32_e32 v10, v10, v14
	v_add_f32_e32 v12, v44, v12
	;; [unrolled: 1-line block ×3, first 2 shown]
	v_mov_b32_e32 v13, v49
	v_add_f32_e32 v12, v40, v12
	v_fmac_f32_e32 v13, 0x3f7ee86f, v18
	v_mul_f32_e32 v50, 0xbe3c28d5, v116
	v_add_f32_e32 v15, v7, v13
	v_add_f32_e32 v13, v33, v12
	;; [unrolled: 1-line block ×3, first 2 shown]
	v_fma_f32 v14, v19, s8, -v50
	v_mul_f32_e32 v51, 0x3f763a35, v118
	v_add_f32_e32 v14, v14, v15
	v_fma_f32 v15, v20, s16, -v51
	v_mul_f32_e32 v52, 0x3eb8f4ab, v121
	v_add_f32_e32 v14, v15, v14
	v_fma_f32 v15, v21, s10, -v52
	v_mul_f32_e32 v53, 0xbf65296c, v131
	v_add_f32_e32 v14, v15, v14
	v_fma_f32 v15, v22, s15, -v53
	v_mul_f32_e32 v54, 0xbf06c442, v132
	v_add_f32_e32 v14, v15, v14
	v_fma_f32 v15, v23, s9, -v54
	v_mul_f32_e32 v55, 0x3f4c4adb, v133
	v_add_f32_e32 v14, v15, v14
	v_fma_f32 v15, v24, s11, -v55
	v_mul_f32_e32 v56, 0xbf7ee86f, v134
	v_add_f32_e32 v14, v15, v14
	v_mov_b32_e32 v15, v56
	v_mul_f32_e32 v57, 0xbe3c28d5, v135
	v_fmac_f32_e32 v15, 0x3dbcf732, v26
	v_mov_b32_e32 v32, v57
	v_add_f32_e32 v15, v6, v15
	v_fmac_f32_e32 v32, 0xbf7ba420, v27
	v_mul_f32_e32 v58, 0x3f763a35, v136
	v_add_f32_e32 v15, v32, v15
	v_mov_b32_e32 v32, v58
	v_fmac_f32_e32 v32, 0xbe8c1d8e, v28
	v_mul_f32_e32 v59, 0x3eb8f4ab, v137
	v_add_f32_e32 v15, v32, v15
	v_mov_b32_e32 v32, v59
	v_fmac_f32_e32 v32, 0x3f6eb680, v29
	v_mul_f32_e32 v60, 0xbf65296c, v138
	v_add_f32_e32 v15, v32, v15
	v_mov_b32_e32 v32, v60
	v_fmac_f32_e32 v32, 0x3ee437d1, v30
	v_mul_f32_e32 v61, 0xbf06c442, v139
	v_add_f32_e32 v15, v32, v15
	v_mov_b32_e32 v32, v61
	v_fmac_f32_e32 v32, 0xbf59a7d5, v31
	v_mul_f32_e32 v62, 0x3f4c4adb, v141
	v_add_f32_e32 v15, v32, v15
	v_mov_b32_e32 v32, v62
	v_fmac_f32_e32 v32, 0xbf1a4643, v35
	v_mul_f32_e32 v63, 0x3f2c7751, v102
	v_add_f32_e32 v32, v32, v15
	v_fma_f32 v15, v25, s14, -v63
	v_mul_f32_e32 v64, 0x3f2c7751, v140
	v_add_f32_e32 v15, v15, v14
	v_mov_b32_e32 v14, v64
	v_fmac_f32_e32 v14, 0x3f3d2fb0, v36
	v_mul_f32_e32 v167, 0x3ee437d1, v113
	v_add_f32_e32 v14, v14, v32
	v_mov_b32_e32 v32, v167
	v_fmac_f32_e32 v32, 0x3f65296c, v18
	v_mul_f32_e32 v168, 0xbf4c4adb, v116
	v_add_f32_e32 v32, v7, v32
	v_fma_f32 v33, v19, s11, -v168
	v_mul_f32_e32 v169, 0x3e3c28d5, v118
	v_add_f32_e32 v32, v33, v32
	v_fma_f32 v33, v20, s8, -v169
	v_mul_f32_e32 v170, 0x3f763a35, v121
	v_add_f32_e32 v32, v33, v32
	v_fma_f32 v33, v21, s16, -v170
	v_mul_f32_e32 v171, 0x3f2c7751, v131
	v_add_f32_e32 v32, v33, v32
	v_fma_f32 v33, v22, s14, -v171
	v_mul_f32_e32 v172, 0xbeb8f4ab, v132
	v_add_f32_e32 v32, v33, v32
	v_fma_f32 v33, v23, s10, -v172
	v_mul_f32_e32 v173, 0xbf7ee86f, v133
	v_add_f32_e32 v32, v33, v32
	v_fma_f32 v33, v24, s17, -v173
	v_mul_f32_e32 v174, 0xbf65296c, v134
	v_add_f32_e32 v32, v33, v32
	v_mov_b32_e32 v33, v174
	v_mul_f32_e32 v175, 0xbf4c4adb, v135
	v_fmac_f32_e32 v33, 0x3ee437d1, v26
	v_mov_b32_e32 v37, v175
	v_add_f32_e32 v33, v6, v33
	v_fmac_f32_e32 v37, 0xbf1a4643, v27
	v_mul_f32_e32 v176, 0x3e3c28d5, v136
	v_add_f32_e32 v33, v37, v33
	v_mov_b32_e32 v37, v176
	v_fmac_f32_e32 v37, 0xbf7ba420, v28
	v_mul_f32_e32 v177, 0x3f763a35, v137
	v_add_f32_e32 v33, v37, v33
	v_mov_b32_e32 v37, v177
	v_fmac_f32_e32 v37, 0xbe8c1d8e, v29
	v_mul_f32_e32 v178, 0x3f2c7751, v138
	v_add_f32_e32 v33, v37, v33
	v_mov_b32_e32 v37, v178
	v_fmac_f32_e32 v37, 0x3f3d2fb0, v30
	v_mul_f32_e32 v179, 0xbeb8f4ab, v139
	v_add_f32_e32 v33, v37, v33
	v_mov_b32_e32 v37, v179
	v_fmac_f32_e32 v37, 0x3f6eb680, v31
	v_mul_f32_e32 v180, 0xbf7ee86f, v141
	v_add_f32_e32 v33, v37, v33
	v_mov_b32_e32 v37, v180
	v_fmac_f32_e32 v37, 0x3dbcf732, v35
	v_mul_f32_e32 v181, 0xbf06c442, v102
	v_add_f32_e32 v37, v37, v33
	v_fma_f32 v33, v25, s9, -v181
	v_mul_f32_e32 v182, 0xbf06c442, v140
	v_add_f32_e32 v33, v33, v32
	v_mov_b32_e32 v32, v182
	v_fmac_f32_e32 v32, 0xbf59a7d5, v36
	v_mul_f32_e32 v183, 0x3f3d2fb0, v113
	v_add_f32_e32 v32, v32, v37
	v_mov_b32_e32 v37, v183
	v_fmac_f32_e32 v37, 0x3f2c7751, v18
	v_mul_f32_e32 v184, 0xbf7ee86f, v116
	v_add_f32_e32 v37, v7, v37
	;; [unrolled: 57-line block ×3, first 2 shown]
	v_fma_f32 v40, v19, s14, -v116
	v_mul_f32_e32 v118, 0xbf65296c, v118
	v_add_f32_e32 v39, v40, v39
	v_fma_f32 v40, v20, s15, -v118
	v_mul_f32_e32 v121, 0xbf7ee86f, v121
	v_add_f32_e32 v39, v40, v39
	;; [unrolled: 3-line block ×6, first 2 shown]
	v_mov_b32_e32 v40, v134
	v_mul_f32_e32 v135, 0xbf2c7751, v135
	v_fmac_f32_e32 v40, 0x3f6eb680, v26
	v_mov_b32_e32 v41, v135
	v_add_f32_e32 v40, v6, v40
	v_fmac_f32_e32 v41, 0x3f3d2fb0, v27
	v_mul_f32_e32 v136, 0xbf65296c, v136
	v_add_f32_e32 v40, v41, v40
	v_mov_b32_e32 v41, v136
	v_fmac_f32_e32 v41, 0x3ee437d1, v28
	v_mul_f32_e32 v137, 0xbf7ee86f, v137
	v_add_f32_e32 v40, v41, v40
	v_mov_b32_e32 v41, v137
	v_fmac_f32_e32 v41, 0x3dbcf732, v29
	v_mul_f32_e32 v138, 0xbf763a35, v138
	v_fmac_f32_e32 v49, 0xbf7ee86f, v18
	v_add_f32_e32 v40, v41, v40
	v_mov_b32_e32 v41, v138
	v_add_f32_e32 v49, v7, v49
	v_fmac_f32_e32 v50, 0xbf7ba420, v19
	v_fmac_f32_e32 v41, 0xbe8c1d8e, v30
	v_mul_f32_e32 v139, 0xbf4c4adb, v139
	v_add_f32_e32 v49, v50, v49
	v_fmac_f32_e32 v51, 0xbe8c1d8e, v20
	v_add_f32_e32 v40, v41, v40
	v_mov_b32_e32 v41, v139
	v_add_f32_e32 v49, v51, v49
	v_fmac_f32_e32 v52, 0x3f6eb680, v21
	v_fmac_f32_e32 v41, 0xbf1a4643, v31
	v_mul_f32_e32 v141, 0xbf06c442, v141
	v_add_f32_e32 v49, v52, v49
	;; [unrolled: 8-line block ×3, first 2 shown]
	v_fmac_f32_e32 v55, 0xbf1a4643, v24
	v_add_f32_e32 v41, v41, v40
	v_fma_f32 v40, v25, s8, -v102
	v_mul_f32_e32 v140, 0xbe3c28d5, v140
	v_add_f32_e32 v49, v55, v49
	v_fmac_f32_e32 v63, 0x3f3d2fb0, v25
	v_add_f32_e32 v40, v40, v39
	v_mov_b32_e32 v39, v140
	v_add_f32_e32 v50, v63, v49
	v_fma_f32 v49, v26, s17, -v56
	v_fmac_f32_e32 v39, 0xbf7ba420, v36
	v_fmac_f32_e32 v86, 0xbe3c28d5, v18
	v_add_f32_e32 v49, v6, v49
	v_fma_f32 v51, v27, s8, -v57
	v_add_f32_e32 v39, v39, v41
	v_add_f32_e32 v41, v7, v86
	v_fmac_f32_e32 v87, 0x3f6eb680, v19
	v_fma_f32 v42, v26, s8, -v95
	v_add_f32_e32 v49, v51, v49
	v_fma_f32 v51, v28, s16, -v58
	v_add_f32_e32 v41, v87, v41
	v_fmac_f32_e32 v89, 0xbf59a7d5, v20
	v_add_f32_e32 v42, v6, v42
	v_fma_f32 v43, v27, s10, -v96
	v_add_f32_e32 v49, v51, v49
	v_fma_f32 v51, v29, s10, -v59
	v_add_f32_e32 v41, v89, v41
	v_fmac_f32_e32 v91, 0x3f3d2fb0, v21
	v_add_f32_e32 v42, v43, v42
	;; [unrolled: 6-line block ×5, first 2 shown]
	v_fma_f32 v43, v31, s15, -v101
	v_add_f32_e32 v49, v51, v49
	v_fma_f32 v51, v36, s14, -v64
	v_fmac_f32_e32 v167, 0xbf65296c, v18
	v_add_f32_e32 v41, v94, v41
	v_add_f32_e32 v42, v43, v42
	v_fma_f32 v43, v35, s16, -v103
	v_fmac_f32_e32 v88, 0x3dbcf732, v25
	v_add_f32_e32 v49, v51, v49
	v_add_f32_e32 v51, v7, v167
	v_fmac_f32_e32 v168, 0xbf1a4643, v19
	v_add_f32_e32 v43, v43, v42
	v_add_f32_e32 v42, v88, v41
	v_fma_f32 v41, v36, s17, -v104
	v_fmac_f32_e32 v105, 0xbf06c442, v18
	v_add_f32_e32 v51, v168, v51
	v_fmac_f32_e32 v169, 0xbf7ba420, v20
	v_add_f32_e32 v41, v41, v43
	v_add_f32_e32 v43, v7, v105
	v_fmac_f32_e32 v106, 0x3ee437d1, v19
	v_fma_f32 v44, v26, s9, -v112
	v_add_f32_e32 v51, v169, v51
	v_fmac_f32_e32 v170, 0xbe8c1d8e, v21
	v_add_f32_e32 v43, v106, v43
	v_fmac_f32_e32 v107, 0x3dbcf732, v20
	v_add_f32_e32 v44, v6, v44
	v_fma_f32 v45, v27, s15, -v114
	v_add_f32_e32 v51, v170, v51
	v_fmac_f32_e32 v171, 0x3f3d2fb0, v22
	v_add_f32_e32 v43, v107, v43
	v_fmac_f32_e32 v108, 0xbf1a4643, v21
	v_add_f32_e32 v44, v45, v44
	;; [unrolled: 6-line block ×5, first 2 shown]
	v_fma_f32 v45, v31, s8, -v120
	v_add_f32_e32 v52, v181, v51
	v_fma_f32 v51, v26, s15, -v174
	v_add_f32_e32 v43, v111, v43
	v_add_f32_e32 v44, v45, v44
	v_fma_f32 v45, v35, s14, -v122
	v_fmac_f32_e32 v98, 0xbe8c1d8e, v25
	v_add_f32_e32 v51, v6, v51
	v_fma_f32 v53, v27, s11, -v175
	v_add_f32_e32 v45, v45, v44
	v_add_f32_e32 v44, v98, v43
	v_fma_f32 v43, v36, s16, -v123
	v_fmac_f32_e32 v124, 0xbf4c4adb, v18
	v_add_f32_e32 v51, v53, v51
	v_fma_f32 v53, v28, s8, -v176
	v_add_f32_e32 v43, v43, v45
	v_add_f32_e32 v45, v7, v124
	v_fmac_f32_e32 v125, 0xbe8c1d8e, v19
	v_fma_f32 v46, v26, s11, -v142
	v_add_f32_e32 v51, v53, v51
	v_fma_f32 v53, v29, s16, -v177
	v_add_f32_e32 v45, v125, v45
	v_fmac_f32_e32 v126, 0x3f6eb680, v20
	v_add_f32_e32 v46, v6, v46
	v_fma_f32 v47, v27, s16, -v143
	v_add_f32_e32 v51, v53, v51
	v_fma_f32 v53, v30, s14, -v178
	v_add_f32_e32 v45, v126, v45
	v_fmac_f32_e32 v127, 0xbf59a7d5, v21
	v_add_f32_e32 v46, v47, v46
	v_fma_f32 v47, v28, s10, -v144
	v_add_f32_e32 v51, v53, v51
	v_fma_f32 v53, v31, s10, -v179
	v_add_f32_e32 v45, v127, v45
	v_fmac_f32_e32 v128, 0x3dbcf732, v22
	v_add_f32_e32 v46, v47, v46
	v_fma_f32 v47, v29, s9, -v145
	v_add_f32_e32 v51, v53, v51
	v_fma_f32 v53, v35, s17, -v180
	v_add_f32_e32 v45, v128, v45
	v_fmac_f32_e32 v129, 0x3f3d2fb0, v23
	v_add_f32_e32 v46, v47, v46
	v_fma_f32 v47, v30, s17, -v146
	v_add_f32_e32 v51, v53, v51
	v_fma_f32 v53, v36, s9, -v182
	v_fmac_f32_e32 v183, 0xbf2c7751, v18
	v_add_f32_e32 v45, v129, v45
	v_fmac_f32_e32 v130, 0xbf7ba420, v24
	v_add_f32_e32 v46, v47, v46
	v_fma_f32 v47, v31, s14, -v147
	v_add_f32_e32 v51, v53, v51
	v_add_f32_e32 v53, v7, v183
	v_fmac_f32_e32 v184, 0x3dbcf732, v19
	v_add_f32_e32 v45, v130, v45
	v_add_f32_e32 v46, v47, v46
	v_fma_f32 v47, v35, s8, -v148
	v_fmac_f32_e32 v149, 0x3ee437d1, v25
	v_add_f32_e32 v53, v184, v53
	v_fmac_f32_e32 v185, 0xbf1a4643, v20
	v_add_f32_e32 v47, v47, v46
	v_add_f32_e32 v46, v149, v45
	v_fma_f32 v45, v36, s15, -v150
	v_fmac_f32_e32 v151, 0xbf763a35, v18
	v_add_f32_e32 v53, v185, v53
	v_fmac_f32_e32 v186, 0xbf7ba420, v21
	v_add_f32_e32 v45, v45, v47
	v_add_f32_e32 v47, v7, v151
	v_fmac_f32_e32 v152, 0xbf59a7d5, v19
	v_add_f32_e32 v53, v186, v53
	v_fmac_f32_e32 v187, 0xbf59a7d5, v22
	;; [unrolled: 2-line block ×9, first 2 shown]
	v_fma_f32 v48, v26, s16, -v158
	v_add_f32_e32 v54, v197, v53
	v_fma_f32 v53, v26, s14, -v190
	v_fmac_f32_e32 v113, 0xbeb8f4ab, v18
	v_fma_f32 v18, v26, s10, -v134
	v_add_f32_e32 v47, v156, v47
	v_fmac_f32_e32 v157, 0x3f6eb680, v24
	v_add_f32_e32 v48, v6, v48
	v_add_f32_e32 v53, v6, v53
	;; [unrolled: 1-line block ×3, first 2 shown]
	v_fma_f32 v18, v27, s14, -v135
	v_add_f32_e32 v47, v157, v47
	v_fma_f32 v86, v27, s9, -v159
	v_fmac_f32_e32 v165, 0xbf1a4643, v25
	v_fma_f32 v55, v27, s17, -v191
	v_add_f32_e32 v7, v7, v113
	v_fmac_f32_e32 v116, 0x3f3d2fb0, v19
	v_add_f32_e32 v6, v18, v6
	v_fma_f32 v18, v28, s15, -v136
	v_add_f32_e32 v86, v86, v48
	v_add_f32_e32 v48, v165, v47
	v_fma_f32 v47, v28, s14, -v160
	v_add_f32_e32 v53, v55, v53
	v_fma_f32 v55, v28, s11, -v192
	v_add_f32_e32 v7, v116, v7
	v_fmac_f32_e32 v118, 0x3ee437d1, v20
	v_add_f32_e32 v6, v18, v6
	v_fma_f32 v18, v29, s17, -v137
	v_add_f32_e32 v47, v47, v86
	v_fma_f32 v86, v29, s15, -v161
	v_add_f32_e32 v53, v55, v53
	v_fma_f32 v55, v29, s8, -v193
	v_add_f32_e32 v7, v118, v7
	v_fmac_f32_e32 v121, 0x3dbcf732, v21
	v_add_f32_e32 v6, v18, v6
	v_fma_f32 v18, v30, s16, -v138
	;; [unrolled: 8-line block ×5, first 2 shown]
	v_add_f32_e32 v47, v86, v47
	v_fma_f32 v86, v36, s11, -v166
	v_add_f32_e32 v53, v55, v53
	v_fma_f32 v55, v36, s10, -v198
	v_add_f32_e32 v7, v133, v7
	v_fmac_f32_e32 v102, 0xbf7ba420, v25
	v_add_f32_e32 v6, v18, v6
	v_lshl_add_u32 v18, v90, 3, v85
	v_add_f32_e32 v47, v86, v47
	v_add_f32_e32 v53, v55, v53
	;; [unrolled: 1-line block ×3, first 2 shown]
	ds_write2_b64 v18, v[12:13], v[39:40] offset1:1
	ds_write2_b64 v18, v[37:38], v[32:33] offset0:2 offset1:3
	ds_write2_b64 v18, v[14:15], v[10:11] offset0:4 offset1:5
	;; [unrolled: 1-line block ×7, first 2 shown]
	ds_write_b64 v18, v[6:7] offset:128
.LBB0_13:
	s_or_b64 exec, exec, s[4:5]
	s_waitcnt lgkmcnt(0)
	s_barrier
	ds_read2_b64 v[0:3], v17 offset1:17
	s_waitcnt lgkmcnt(0)
	v_mul_f32_e32 v6, v5, v3
	v_mul_f32_e32 v5, v5, v2
	v_fmac_f32_e32 v6, v4, v2
	v_fma_f32 v3, v4, v3, -v5
	v_sub_f32_e32 v2, v0, v6
	v_sub_f32_e32 v3, v1, v3
	v_fma_f32 v0, v0, 2.0, -v2
	v_fma_f32 v1, v1, 2.0, -v3
	ds_write2_b64 v16, v[0:1], v[2:3] offset1:17
	s_waitcnt lgkmcnt(0)
	s_barrier
	s_and_b64 exec, exec, vcc
	s_cbranch_execz .LBB0_15
; %bb.14:
	global_load_dwordx2 v[0:1], v66, s[6:7]
	ds_read_b64 v[4:5], v84
	v_mad_u64_u32 v[2:3], s[4:5], s2, v34, 0
	v_mad_u64_u32 v[6:7], s[4:5], s0, v83, 0
	s_waitcnt lgkmcnt(0)
	v_mad_u64_u32 v[8:9], s[2:3], s3, v34, v[3:4]
	s_mov_b32 s4, 0x1e1e1e1e
	s_mov_b32 s5, 0x3f9e1e1e
	v_mad_u64_u32 v[9:10], s[2:3], s1, v83, v[7:8]
	v_mov_b32_e32 v11, s13
	v_mov_b32_e32 v7, v9
	s_waitcnt vmcnt(0)
	v_mul_f32_e32 v3, v5, v1
	v_mul_f32_e32 v1, v4, v1
	v_fmac_f32_e32 v3, v4, v0
	v_fma_f32 v4, v0, v5, -v1
	v_cvt_f64_f32_e32 v[0:1], v3
	v_cvt_f64_f32_e32 v[4:5], v4
	v_mov_b32_e32 v3, v8
	v_mul_f64 v[8:9], v[0:1], s[4:5]
	v_mul_f64 v[4:5], v[4:5], s[4:5]
	v_lshlrev_b64 v[0:1], 3, v[2:3]
	v_lshlrev_b64 v[2:3], 3, v[6:7]
	v_add_co_u32_e32 v0, vcc, s12, v0
	v_addc_co_u32_e32 v1, vcc, v11, v1, vcc
	v_cvt_f32_f64_e32 v6, v[8:9]
	v_cvt_f32_f64_e32 v7, v[4:5]
	v_add_co_u32_e32 v2, vcc, v0, v2
	v_addc_co_u32_e32 v3, vcc, v1, v3, vcc
	global_store_dwordx2 v[2:3], v[6:7], off
	global_load_dwordx2 v[7:8], v66, s[6:7] offset:16
	v_lshl_add_u32 v2, v82, 3, v66
	ds_read2_b64 v[3:6], v2 offset0:2 offset1:4
	v_mad_u64_u32 v[9:10], s[2:3], s0, v81, 0
	s_waitcnt vmcnt(0) lgkmcnt(0)
	v_mul_f32_e32 v11, v4, v8
	v_mul_f32_e32 v8, v3, v8
	v_fmac_f32_e32 v11, v3, v7
	v_fma_f32 v7, v7, v4, -v8
	v_cvt_f64_f32_e32 v[3:4], v11
	v_cvt_f64_f32_e32 v[7:8], v7
	v_mad_u64_u32 v[10:11], s[2:3], s1, v81, v[10:11]
	v_mul_f64 v[3:4], v[3:4], s[4:5]
	v_mul_f64 v[7:8], v[7:8], s[4:5]
	v_lshlrev_b64 v[9:10], 3, v[9:10]
	v_cvt_f32_f64_e32 v3, v[3:4]
	v_cvt_f32_f64_e32 v4, v[7:8]
	v_add_co_u32_e32 v7, vcc, v0, v9
	v_addc_co_u32_e32 v8, vcc, v1, v10, vcc
	global_store_dwordx2 v[7:8], v[3:4], off
	global_load_dwordx2 v[3:4], v66, s[6:7] offset:32
	v_mad_u64_u32 v[7:8], s[2:3], s0, v80, 0
	s_waitcnt vmcnt(0)
	v_mul_f32_e32 v9, v6, v4
	v_mul_f32_e32 v4, v5, v4
	v_fmac_f32_e32 v9, v5, v3
	v_fma_f32 v5, v3, v6, -v4
	v_cvt_f64_f32_e32 v[3:4], v9
	v_cvt_f64_f32_e32 v[5:6], v5
	v_mad_u64_u32 v[8:9], s[2:3], s1, v80, v[8:9]
	v_mul_f64 v[3:4], v[3:4], s[4:5]
	v_mul_f64 v[5:6], v[5:6], s[4:5]
	v_lshlrev_b64 v[7:8], 3, v[7:8]
	v_mad_u64_u32 v[9:10], s[2:3], s0, v79, 0
	v_cvt_f32_f64_e32 v3, v[3:4]
	v_cvt_f32_f64_e32 v4, v[5:6]
	v_add_co_u32_e32 v5, vcc, v0, v7
	v_addc_co_u32_e32 v6, vcc, v1, v8, vcc
	global_store_dwordx2 v[5:6], v[3:4], off
	global_load_dwordx2 v[7:8], v66, s[6:7] offset:48
	ds_read2_b64 v[3:6], v2 offset0:6 offset1:8
	s_waitcnt vmcnt(0) lgkmcnt(0)
	v_mul_f32_e32 v11, v4, v8
	v_mul_f32_e32 v8, v3, v8
	v_fmac_f32_e32 v11, v3, v7
	v_fma_f32 v7, v7, v4, -v8
	v_cvt_f64_f32_e32 v[3:4], v11
	v_cvt_f64_f32_e32 v[7:8], v7
	v_mad_u64_u32 v[10:11], s[2:3], s1, v79, v[10:11]
	v_mul_f64 v[3:4], v[3:4], s[4:5]
	v_mul_f64 v[7:8], v[7:8], s[4:5]
	v_lshlrev_b64 v[9:10], 3, v[9:10]
	v_cvt_f32_f64_e32 v3, v[3:4]
	v_cvt_f32_f64_e32 v4, v[7:8]
	v_add_co_u32_e32 v7, vcc, v0, v9
	v_addc_co_u32_e32 v8, vcc, v1, v10, vcc
	global_store_dwordx2 v[7:8], v[3:4], off
	global_load_dwordx2 v[3:4], v66, s[6:7] offset:64
	v_mad_u64_u32 v[7:8], s[2:3], s0, v78, 0
	s_waitcnt vmcnt(0)
	v_mul_f32_e32 v9, v6, v4
	v_mul_f32_e32 v4, v5, v4
	v_fmac_f32_e32 v9, v5, v3
	v_fma_f32 v5, v3, v6, -v4
	v_cvt_f64_f32_e32 v[3:4], v9
	v_cvt_f64_f32_e32 v[5:6], v5
	v_mad_u64_u32 v[8:9], s[2:3], s1, v78, v[8:9]
	v_mul_f64 v[3:4], v[3:4], s[4:5]
	v_mul_f64 v[5:6], v[5:6], s[4:5]
	v_lshlrev_b64 v[7:8], 3, v[7:8]
	v_mad_u64_u32 v[9:10], s[2:3], s0, v77, 0
	v_cvt_f32_f64_e32 v3, v[3:4]
	v_cvt_f32_f64_e32 v4, v[5:6]
	v_add_co_u32_e32 v5, vcc, v0, v7
	v_addc_co_u32_e32 v6, vcc, v1, v8, vcc
	global_store_dwordx2 v[5:6], v[3:4], off
	global_load_dwordx2 v[7:8], v66, s[6:7] offset:80
	ds_read2_b64 v[3:6], v2 offset0:10 offset1:12
	;; [unrolled: 37-line block ×6, first 2 shown]
	s_waitcnt vmcnt(0) lgkmcnt(0)
	v_mul_f32_e32 v11, v4, v8
	v_mul_f32_e32 v8, v3, v8
	v_fmac_f32_e32 v11, v3, v7
	v_fma_f32 v7, v7, v4, -v8
	v_cvt_f64_f32_e32 v[3:4], v11
	v_cvt_f64_f32_e32 v[7:8], v7
	v_mad_u64_u32 v[10:11], s[2:3], s1, v69, v[10:11]
	v_mul_f64 v[3:4], v[3:4], s[4:5]
	v_mul_f64 v[7:8], v[7:8], s[4:5]
	v_lshlrev_b64 v[9:10], 3, v[9:10]
	v_cvt_f32_f64_e32 v3, v[3:4]
	v_cvt_f32_f64_e32 v4, v[7:8]
	v_add_co_u32_e32 v7, vcc, v0, v9
	v_addc_co_u32_e32 v8, vcc, v1, v10, vcc
	global_store_dwordx2 v[7:8], v[3:4], off
	global_load_dwordx2 v[3:4], v66, s[6:7] offset:224
	v_mad_u64_u32 v[7:8], s[2:3], s0, v68, 0
	s_waitcnt vmcnt(0)
	v_mul_f32_e32 v9, v6, v4
	v_mul_f32_e32 v4, v5, v4
	v_fmac_f32_e32 v9, v5, v3
	v_fma_f32 v5, v3, v6, -v4
	v_cvt_f64_f32_e32 v[3:4], v9
	v_cvt_f64_f32_e32 v[5:6], v5
	v_mad_u64_u32 v[8:9], s[2:3], s1, v68, v[8:9]
	v_mul_f64 v[3:4], v[3:4], s[4:5]
	v_mul_f64 v[5:6], v[5:6], s[4:5]
	v_lshlrev_b64 v[7:8], 3, v[7:8]
	v_cvt_f32_f64_e32 v3, v[3:4]
	v_cvt_f32_f64_e32 v4, v[5:6]
	v_add_co_u32_e32 v5, vcc, v0, v7
	v_addc_co_u32_e32 v6, vcc, v1, v8, vcc
	global_store_dwordx2 v[5:6], v[3:4], off
	global_load_dwordx2 v[6:7], v66, s[6:7] offset:240
	ds_read2_b64 v[2:5], v2 offset0:30 offset1:32
	v_mad_u64_u32 v[8:9], s[2:3], s0, v67, 0
	s_waitcnt vmcnt(0) lgkmcnt(0)
	v_mul_f32_e32 v10, v3, v7
	v_mul_f32_e32 v7, v2, v7
	v_fmac_f32_e32 v10, v2, v6
	v_fma_f32 v6, v6, v3, -v7
	v_cvt_f64_f32_e32 v[2:3], v10
	v_cvt_f64_f32_e32 v[6:7], v6
	v_mad_u64_u32 v[9:10], s[2:3], s1, v67, v[9:10]
	v_mul_f64 v[2:3], v[2:3], s[4:5]
	v_mul_f64 v[6:7], v[6:7], s[4:5]
	v_lshlrev_b64 v[8:9], 3, v[8:9]
	v_cvt_f32_f64_e32 v2, v[2:3]
	v_cvt_f32_f64_e32 v3, v[6:7]
	v_add_co_u32_e32 v6, vcc, v0, v8
	v_addc_co_u32_e32 v7, vcc, v1, v9, vcc
	global_store_dwordx2 v[6:7], v[2:3], off
	global_load_dwordx2 v[2:3], v66, s[6:7] offset:256
	v_mad_u64_u32 v[6:7], s[2:3], s0, v65, 0
	s_waitcnt vmcnt(0)
	v_mul_f32_e32 v8, v5, v3
	v_mul_f32_e32 v3, v4, v3
	v_fmac_f32_e32 v8, v4, v2
	v_fma_f32 v4, v2, v5, -v3
	v_cvt_f64_f32_e32 v[2:3], v8
	v_cvt_f64_f32_e32 v[4:5], v4
	v_mad_u64_u32 v[7:8], s[0:1], s1, v65, v[7:8]
	v_mul_f64 v[2:3], v[2:3], s[4:5]
	v_mul_f64 v[4:5], v[4:5], s[4:5]
	v_lshlrev_b64 v[6:7], 3, v[6:7]
	v_add_co_u32_e32 v0, vcc, v0, v6
	v_addc_co_u32_e32 v1, vcc, v1, v7, vcc
	v_cvt_f32_f64_e32 v2, v[2:3]
	v_cvt_f32_f64_e32 v3, v[4:5]
	global_store_dwordx2 v[0:1], v[2:3], off
.LBB0_15:
	s_endpgm
	.section	.rodata,"a",@progbits
	.p2align	6, 0x0
	.amdhsa_kernel bluestein_single_back_len34_dim1_sp_op_CI_CI
		.amdhsa_group_segment_fixed_size 4080
		.amdhsa_private_segment_fixed_size 0
		.amdhsa_kernarg_size 104
		.amdhsa_user_sgpr_count 6
		.amdhsa_user_sgpr_private_segment_buffer 1
		.amdhsa_user_sgpr_dispatch_ptr 0
		.amdhsa_user_sgpr_queue_ptr 0
		.amdhsa_user_sgpr_kernarg_segment_ptr 1
		.amdhsa_user_sgpr_dispatch_id 0
		.amdhsa_user_sgpr_flat_scratch_init 0
		.amdhsa_user_sgpr_private_segment_size 0
		.amdhsa_uses_dynamic_stack 0
		.amdhsa_system_sgpr_private_segment_wavefront_offset 0
		.amdhsa_system_sgpr_workgroup_id_x 1
		.amdhsa_system_sgpr_workgroup_id_y 0
		.amdhsa_system_sgpr_workgroup_id_z 0
		.amdhsa_system_sgpr_workgroup_info 0
		.amdhsa_system_vgpr_workitem_id 0
		.amdhsa_next_free_vgpr 199
		.amdhsa_next_free_sgpr 18
		.amdhsa_reserve_vcc 1
		.amdhsa_reserve_flat_scratch 0
		.amdhsa_float_round_mode_32 0
		.amdhsa_float_round_mode_16_64 0
		.amdhsa_float_denorm_mode_32 3
		.amdhsa_float_denorm_mode_16_64 3
		.amdhsa_dx10_clamp 1
		.amdhsa_ieee_mode 1
		.amdhsa_fp16_overflow 0
		.amdhsa_exception_fp_ieee_invalid_op 0
		.amdhsa_exception_fp_denorm_src 0
		.amdhsa_exception_fp_ieee_div_zero 0
		.amdhsa_exception_fp_ieee_overflow 0
		.amdhsa_exception_fp_ieee_underflow 0
		.amdhsa_exception_fp_ieee_inexact 0
		.amdhsa_exception_int_div_zero 0
	.end_amdhsa_kernel
	.text
.Lfunc_end0:
	.size	bluestein_single_back_len34_dim1_sp_op_CI_CI, .Lfunc_end0-bluestein_single_back_len34_dim1_sp_op_CI_CI
                                        ; -- End function
	.section	.AMDGPU.csdata,"",@progbits
; Kernel info:
; codeLenInByte = 14820
; NumSgprs: 22
; NumVgprs: 199
; ScratchSize: 0
; MemoryBound: 0
; FloatMode: 240
; IeeeMode: 1
; LDSByteSize: 4080 bytes/workgroup (compile time only)
; SGPRBlocks: 2
; VGPRBlocks: 49
; NumSGPRsForWavesPerEU: 22
; NumVGPRsForWavesPerEU: 199
; Occupancy: 1
; WaveLimiterHint : 1
; COMPUTE_PGM_RSRC2:SCRATCH_EN: 0
; COMPUTE_PGM_RSRC2:USER_SGPR: 6
; COMPUTE_PGM_RSRC2:TRAP_HANDLER: 0
; COMPUTE_PGM_RSRC2:TGID_X_EN: 1
; COMPUTE_PGM_RSRC2:TGID_Y_EN: 0
; COMPUTE_PGM_RSRC2:TGID_Z_EN: 0
; COMPUTE_PGM_RSRC2:TIDIG_COMP_CNT: 0
	.type	__hip_cuid_8c86a26d861cc970,@object ; @__hip_cuid_8c86a26d861cc970
	.section	.bss,"aw",@nobits
	.globl	__hip_cuid_8c86a26d861cc970
__hip_cuid_8c86a26d861cc970:
	.byte	0                               ; 0x0
	.size	__hip_cuid_8c86a26d861cc970, 1

	.ident	"AMD clang version 19.0.0git (https://github.com/RadeonOpenCompute/llvm-project roc-6.4.0 25133 c7fe45cf4b819c5991fe208aaa96edf142730f1d)"
	.section	".note.GNU-stack","",@progbits
	.addrsig
	.addrsig_sym __hip_cuid_8c86a26d861cc970
	.amdgpu_metadata
---
amdhsa.kernels:
  - .args:
      - .actual_access:  read_only
        .address_space:  global
        .offset:         0
        .size:           8
        .value_kind:     global_buffer
      - .actual_access:  read_only
        .address_space:  global
        .offset:         8
        .size:           8
        .value_kind:     global_buffer
      - .actual_access:  read_only
        .address_space:  global
        .offset:         16
        .size:           8
        .value_kind:     global_buffer
      - .actual_access:  read_only
        .address_space:  global
        .offset:         24
        .size:           8
        .value_kind:     global_buffer
      - .actual_access:  read_only
        .address_space:  global
        .offset:         32
        .size:           8
        .value_kind:     global_buffer
      - .offset:         40
        .size:           8
        .value_kind:     by_value
      - .address_space:  global
        .offset:         48
        .size:           8
        .value_kind:     global_buffer
      - .address_space:  global
        .offset:         56
        .size:           8
        .value_kind:     global_buffer
      - .address_space:  global
        .offset:         64
        .size:           8
        .value_kind:     global_buffer
      - .address_space:  global
        .offset:         72
        .size:           8
        .value_kind:     global_buffer
      - .offset:         80
        .size:           4
        .value_kind:     by_value
      - .address_space:  global
        .offset:         88
        .size:           8
        .value_kind:     global_buffer
      - .address_space:  global
        .offset:         96
        .size:           8
        .value_kind:     global_buffer
    .group_segment_fixed_size: 4080
    .kernarg_segment_align: 8
    .kernarg_segment_size: 104
    .language:       OpenCL C
    .language_version:
      - 2
      - 0
    .max_flat_workgroup_size: 255
    .name:           bluestein_single_back_len34_dim1_sp_op_CI_CI
    .private_segment_fixed_size: 0
    .sgpr_count:     22
    .sgpr_spill_count: 0
    .symbol:         bluestein_single_back_len34_dim1_sp_op_CI_CI.kd
    .uniform_work_group_size: 1
    .uses_dynamic_stack: false
    .vgpr_count:     199
    .vgpr_spill_count: 0
    .wavefront_size: 64
amdhsa.target:   amdgcn-amd-amdhsa--gfx906
amdhsa.version:
  - 1
  - 2
...

	.end_amdgpu_metadata
